;; amdgpu-corpus repo=ROCm/rocSOLVER kind=compiled arch=gfx90a opt=O3
	.text
	.amdgcn_target "amdgcn-amd-amdhsa--gfx90a"
	.amdhsa_code_object_version 6
	.section	.text._ZN9rocsolver6v33100L18getf2_panel_kernelI19rocblas_complex_numIdEiiPS3_EEvT0_S5_T2_lS5_lPS5_llPT1_S5_S5_S7_l,"axG",@progbits,_ZN9rocsolver6v33100L18getf2_panel_kernelI19rocblas_complex_numIdEiiPS3_EEvT0_S5_T2_lS5_lPS5_llPT1_S5_S5_S7_l,comdat
	.globl	_ZN9rocsolver6v33100L18getf2_panel_kernelI19rocblas_complex_numIdEiiPS3_EEvT0_S5_T2_lS5_lPS5_llPT1_S5_S5_S7_l ; -- Begin function _ZN9rocsolver6v33100L18getf2_panel_kernelI19rocblas_complex_numIdEiiPS3_EEvT0_S5_T2_lS5_lPS5_llPT1_S5_S5_S7_l
	.p2align	8
	.type	_ZN9rocsolver6v33100L18getf2_panel_kernelI19rocblas_complex_numIdEiiPS3_EEvT0_S5_T2_lS5_lPS5_llPT1_S5_S5_S7_l,@function
_ZN9rocsolver6v33100L18getf2_panel_kernelI19rocblas_complex_numIdEiiPS3_EEvT0_S5_T2_lS5_lPS5_llPT1_S5_S5_S7_l: ; @_ZN9rocsolver6v33100L18getf2_panel_kernelI19rocblas_complex_numIdEiiPS3_EEvT0_S5_T2_lS5_lPS5_llPT1_S5_S5_S7_l
; %bb.0:
	s_load_dwordx4 s[0:3], s[4:5], 0x50
	s_load_dword s28, s[4:5], 0x6c
	s_ashr_i32 s17, s7, 31
	s_mov_b32 s16, s7
	s_mov_b64 s[22:23], 0
	s_waitcnt lgkmcnt(0)
	s_cmp_eq_u64 s[0:1], 0
	s_cselect_b64 s[18:19], -1, 0
	s_and_b64 vcc, exec, s[18:19]
	s_cbranch_vccnz .LBB0_2
; %bb.1:
	s_mul_i32 s3, s16, s3
	s_mul_hi_u32 s6, s16, s2
	s_add_i32 s3, s6, s3
	s_mul_i32 s6, s17, s2
	s_add_i32 s3, s3, s6
	s_mul_i32 s2, s16, s2
	s_lshl_b64 s[2:3], s[2:3], 2
	s_add_u32 s22, s0, s2
	s_addc_u32 s23, s1, s3
.LBB0_2:
	s_load_dwordx2 s[24:25], s[4:5], 0x0
	s_load_dwordx4 s[0:3], s[4:5], 0x8
	s_load_dwordx8 s[8:15], s[4:5], 0x20
	s_load_dwordx2 s[20:21], s[4:5], 0x40
	s_and_b32 s29, s28, 0xffff
	v_bfe_u32 v9, v0, 10, 10
	v_and_b32_e32 v8, 0x3ff, v0
	s_waitcnt lgkmcnt(0)
	s_mul_i32 s6, s16, s9
	s_mul_hi_u32 s7, s16, s8
	s_add_i32 s6, s7, s6
	s_mul_i32 s7, s17, s8
	s_add_i32 s7, s6, s7
	s_mul_i32 s6, s16, s8
	s_lshl_b64 s[6:7], s[6:7], 4
	s_add_u32 s6, s0, s6
	s_addc_u32 s7, s1, s7
	s_lshl_b64 s[0:1], s[2:3], 4
	s_add_u32 s26, s6, s0
	s_addc_u32 s27, s7, s1
	s_lshl_b32 s0, s29, 4
	s_add_i32 s8, s0, 16
	s_lshl_b32 s0, s25, 4
	s_add_i32 s33, s8, s0
	;; [unrolled: 2-line block ×3, first 2 shown]
	v_cmp_eq_u32_e64 s[0:1], 0, v9
                                        ; implicit-def: $vgpr16_vgpr17
	s_and_saveexec_b64 s[2:3], s[0:1]
	s_cbranch_execz .LBB0_6
; %bb.3:
	v_pk_mov_b32 v[0:1], 0, 0
	v_cmp_gt_i32_e32 vcc, s24, v8
	v_pk_mov_b32 v[2:3], v[0:1], v[0:1] op_sel:[0,1]
	s_and_saveexec_b64 s[6:7], vcc
	s_cbranch_execz .LBB0_5
; %bb.4:
	v_lshlrev_b32_e32 v0, 4, v8
	global_load_dwordx4 v[0:3], v0, s[26:27]
.LBB0_5:
	s_or_b64 exec, exec, s[6:7]
	v_lshl_add_u32 v4, v8, 4, 16
	s_waitcnt vmcnt(0)
	ds_write2_b64 v4, v[0:1], v[2:3] offset1:1
	v_xor_b32_e32 v4, 0x80000000, v1
	v_cmp_gt_f64_e32 vcc, 0, v[0:1]
	v_cndmask_b32_e32 v1, v1, v4, vcc
	v_cndmask_b32_e32 v0, v0, v0, vcc
	v_xor_b32_e32 v4, 0x80000000, v3
	v_cmp_gt_f64_e32 vcc, 0, v[2:3]
	v_cndmask_b32_e32 v3, v3, v4, vcc
	v_cndmask_b32_e32 v2, v2, v2, vcc
	v_add_f64 v[16:17], v[0:1], v[2:3]
	v_lshl_add_u32 v0, v8, 3, s33
	ds_write_b64 v0, v[16:17]
	v_lshl_add_u32 v0, v8, 2, s30
	ds_write_b32 v0, v8
.LBB0_6:
	s_or_b64 exec, exec, s[2:3]
	s_load_dword s40, s[4:5], 0x4c
	s_cmp_lt_i32 s25, 1
	s_cbranch_scc1 .LBB0_54
; %bb.7:
	s_mul_i32 s2, s16, s15
	s_mul_hi_u32 s3, s16, s14
	s_add_i32 s2, s3, s2
	s_mul_i32 s3, s17, s14
	s_add_i32 s3, s2, s3
	s_mul_i32 s2, s16, s14
	s_lshr_b32 s42, s28, 16
	s_lshl_b64 s[2:3], s[2:3], 2
	s_load_dword s41, s[4:5], 0x18
	s_add_u32 s4, s10, s2
	s_addc_u32 s5, s11, s3
	s_lshl_b64 s[2:3], s[12:13], 2
	s_add_u32 s43, s4, s2
	s_addc_u32 s44, s5, s3
	s_lshr_b32 s45, s29, 1
	s_cmp_gt_u32 s29, 1
	v_lshlrev_b32_e32 v0, 2, v8
	v_or_b32_e32 v1, v8, v9
	v_cmp_gt_u32_e32 vcc, s25, v8
	v_add_u32_e32 v31, 2, v9
	s_cselect_b64 s[10:11], -1, 0
	v_add_u32_e32 v27, s30, v0
	v_cmp_eq_u32_e64 s[2:3], 0, v1
	v_lshlrev_b32_e32 v1, 4, v8
	s_and_b64 s[28:29], s[0:1], vcc
	v_add_co_u32_e32 v12, vcc, s22, v0
	s_waitcnt lgkmcnt(0)
	v_mad_u64_u32 v[14:15], s[12:13], s41, v31, v[8:9]
	v_lshlrev_b32_e32 v0, 4, v9
	s_mov_b32 s15, 0
	v_add_u32_e32 v28, 16, v1
	v_add_u32_e32 v30, s8, v1
	v_mov_b32_e32 v1, s23
	v_add3_u32 v15, s8, v0, 32
	v_cndmask_b32_e64 v0, 0, 1, s[10:11]
	v_lshl_add_u32 v26, v8, 3, s33
	s_add_i32 s46, s40, 1
	v_cmp_gt_i32_e64 s[4:5], s24, v8
	v_mul_lo_u32 v29, v8, s41
	v_cmp_le_i32_e64 s[6:7], s24, v8
	s_add_i32 s47, s25, -1
	v_mov_b32_e32 v10, 0
	v_addc_co_u32_e32 v13, vcc, 0, v1, vcc
	s_add_i32 s48, s8, 16
	s_mul_i32 s49, s41, s42
	s_lshl_b32 s50, s42, 4
	v_cmp_ne_u32_e64 s[8:9], 1, v0
	v_mov_b32_e32 v32, s30
	s_mov_b64 s[30:31], src_shared_base
	s_mov_b32 s24, 0
	s_mov_b32 s14, s15
	s_branch .LBB0_9
.LBB0_8:                                ;   in Loop: Header=BB0_9 Depth=1
	s_or_b64 exec, exec, s[10:11]
	s_add_i32 s14, s14, 1
	v_add_u32_e32 v14, s41, v14
	s_cmp_eq_u32 s14, s25
	v_add_u32_e32 v15, 16, v15
	s_cbranch_scc1 .LBB0_55
.LBB0_9:                                ; =>This Loop Header: Depth=1
                                        ;     Child Loop BB0_16 Depth 2
                                        ;     Child Loop BB0_48 Depth 2
	s_and_b64 vcc, exec, s[8:9]
	s_mov_b32 s30, s45
	v_mov_b32_e32 v2, v8
	s_barrier
	s_cbranch_vccnz .LBB0_18
; %bb.10:                               ;   in Loop: Header=BB0_9 Depth=1
	v_cmp_gt_u32_e32 vcc, s30, v8
	s_and_b64 s[10:11], s[0:1], vcc
	s_and_saveexec_b64 s[12:13], s[10:11]
	s_cbranch_execz .LBB0_16
.LBB0_11:                               ;   in Loop: Header=BB0_9 Depth=1
	v_lshl_add_u32 v0, s30, 3, v26
	ds_read_b64 v[0:1], v0
	v_lshl_add_u32 v3, s30, 2, v27
	ds_read_b32 v3, v3
	s_waitcnt lgkmcnt(0)
	v_cmp_lt_f64_e64 s[34:35], v[16:17], v[0:1]
	v_cmp_nlt_f64_e32 vcc, v[16:17], v[0:1]
	s_and_saveexec_b64 s[36:37], vcc
	s_cbranch_execz .LBB0_13
; %bb.12:                               ;   in Loop: Header=BB0_9 Depth=1
	v_cmp_eq_f64_e32 vcc, v[16:17], v[0:1]
	s_waitcnt lgkmcnt(0)
	v_cmp_gt_i32_e64 s[10:11], v2, v3
	s_and_b64 s[10:11], vcc, s[10:11]
	s_andn2_b64 s[34:35], s[34:35], exec
	s_and_b64 s[10:11], s[10:11], exec
	s_or_b64 s[34:35], s[34:35], s[10:11]
.LBB0_13:                               ;   in Loop: Header=BB0_9 Depth=1
	s_or_b64 exec, exec, s[36:37]
	s_and_saveexec_b64 s[10:11], s[34:35]
	s_cbranch_execz .LBB0_15
; %bb.14:                               ;   in Loop: Header=BB0_9 Depth=1
	v_pk_mov_b32 v[16:17], v[0:1], v[0:1] op_sel:[0,1]
	s_waitcnt lgkmcnt(0)
	v_mov_b32_e32 v2, v3
	ds_write_b64 v26, v[0:1]
	ds_write_b32 v27, v3
.LBB0_15:                               ;   in Loop: Header=BB0_9 Depth=1
	s_or_b64 exec, exec, s[10:11]
.LBB0_16:                               ;   Parent Loop BB0_9 Depth=1
                                        ; =>  This Inner Loop Header: Depth=2
	s_or_b64 exec, exec, s[12:13]
	s_lshr_b32 s10, s30, 1
	s_cmp_lt_u32 s30, 2
	s_waitcnt lgkmcnt(0)
	s_barrier
	s_cbranch_scc1 .LBB0_18
; %bb.17:                               ;   in Loop: Header=BB0_16 Depth=2
	s_mov_b32 s30, s10
	v_cmp_gt_u32_e32 vcc, s30, v8
	s_and_b64 s[10:11], s[0:1], vcc
	s_and_saveexec_b64 s[12:13], s[10:11]
	s_cbranch_execnz .LBB0_11
	s_branch .LBB0_16
.LBB0_18:                               ;   in Loop: Header=BB0_9 Depth=1
	ds_read_b32 v0, v32
	s_waitcnt lgkmcnt(0)
	v_lshlrev_b32_e32 v1, 4, v0
	v_add_u32_e32 v1, 16, v1
	ds_read2_b64 v[4:7], v1 offset1:1
	v_readfirstlane_b32 s34, v0
	s_waitcnt lgkmcnt(0)
	v_cmp_eq_f64_e32 vcc, 0, v[4:5]
	v_cmp_eq_f64_e64 s[10:11], 0, v[6:7]
	s_and_b64 s[10:11], vcc, s[10:11]
	s_andn2_b64 vcc, exec, s[10:11]
	s_cbranch_vccz .LBB0_21
; %bb.19:                               ;   in Loop: Header=BB0_9 Depth=1
	v_xor_b32_e32 v0, 0x80000000, v5
	v_cmp_gt_f64_e32 vcc, 0, v[4:5]
	v_cndmask_b32_e32 v1, v5, v0, vcc
	v_xor_b32_e32 v2, 0x80000000, v7
	v_cmp_gt_f64_e32 vcc, 0, v[6:7]
	v_mov_b32_e32 v0, v4
	v_cndmask_b32_e32 v3, v7, v2, vcc
	v_mov_b32_e32 v2, v6
	v_cmp_ngt_f64_e32 vcc, v[0:1], v[2:3]
	s_cbranch_vccz .LBB0_22
; %bb.20:                               ;   in Loop: Header=BB0_9 Depth=1
	v_div_scale_f64 v[0:1], s[10:11], v[6:7], v[6:7], v[4:5]
	v_rcp_f64_e32 v[2:3], v[0:1]
	v_div_scale_f64 v[18:19], vcc, v[4:5], v[6:7], v[4:5]
	v_fma_f64 v[20:21], -v[0:1], v[2:3], 1.0
	v_fmac_f64_e32 v[2:3], v[2:3], v[20:21]
	v_fma_f64 v[20:21], -v[0:1], v[2:3], 1.0
	v_fmac_f64_e32 v[2:3], v[2:3], v[20:21]
	v_mul_f64 v[20:21], v[18:19], v[2:3]
	v_fma_f64 v[0:1], -v[0:1], v[20:21], v[18:19]
	v_div_fmas_f64 v[0:1], v[0:1], v[2:3], v[20:21]
	v_div_fixup_f64 v[0:1], v[0:1], v[6:7], v[4:5]
	v_fma_f64 v[2:3], v[4:5], v[0:1], v[6:7]
	v_div_scale_f64 v[18:19], s[10:11], v[2:3], v[2:3], 1.0
	v_rcp_f64_e32 v[20:21], v[18:19]
	v_fma_f64 v[22:23], -v[18:19], v[20:21], 1.0
	v_fmac_f64_e32 v[20:21], v[20:21], v[22:23]
	v_fma_f64 v[22:23], -v[18:19], v[20:21], 1.0
	v_fmac_f64_e32 v[20:21], v[20:21], v[22:23]
	v_div_scale_f64 v[22:23], vcc, 1.0, v[2:3], 1.0
	v_mul_f64 v[24:25], v[22:23], v[20:21]
	v_fma_f64 v[18:19], -v[18:19], v[24:25], v[22:23]
	s_nop 1
	v_div_fmas_f64 v[18:19], v[18:19], v[20:21], v[24:25]
	v_div_fixup_f64 v[2:3], v[18:19], v[2:3], 1.0
	v_mul_f64 v[0:1], v[0:1], v[2:3]
	v_xor_b32_e32 v3, 0x80000000, v3
	s_cbranch_execz .LBB0_23
	s_branch .LBB0_24
.LBB0_21:                               ;   in Loop: Header=BB0_9 Depth=1
                                        ; implicit-def: $sgpr34
                                        ; implicit-def: $vgpr2_vgpr3
	s_branch .LBB0_25
.LBB0_22:                               ;   in Loop: Header=BB0_9 Depth=1
                                        ; implicit-def: $vgpr2_vgpr3
.LBB0_23:                               ;   in Loop: Header=BB0_9 Depth=1
	v_div_scale_f64 v[0:1], s[10:11], v[4:5], v[4:5], v[6:7]
	v_rcp_f64_e32 v[2:3], v[0:1]
	v_div_scale_f64 v[18:19], vcc, v[6:7], v[4:5], v[6:7]
	v_fma_f64 v[20:21], -v[0:1], v[2:3], 1.0
	v_fmac_f64_e32 v[2:3], v[2:3], v[20:21]
	v_fma_f64 v[20:21], -v[0:1], v[2:3], 1.0
	v_fmac_f64_e32 v[2:3], v[2:3], v[20:21]
	v_mul_f64 v[20:21], v[18:19], v[2:3]
	v_fma_f64 v[0:1], -v[0:1], v[20:21], v[18:19]
	v_div_fmas_f64 v[0:1], v[0:1], v[2:3], v[20:21]
	v_div_fixup_f64 v[2:3], v[0:1], v[4:5], v[6:7]
	v_fma_f64 v[0:1], v[6:7], v[2:3], v[4:5]
	v_div_scale_f64 v[18:19], s[10:11], v[0:1], v[0:1], 1.0
	v_rcp_f64_e32 v[20:21], v[18:19]
	v_fma_f64 v[22:23], -v[18:19], v[20:21], 1.0
	v_fmac_f64_e32 v[20:21], v[20:21], v[22:23]
	v_fma_f64 v[22:23], -v[18:19], v[20:21], 1.0
	v_fmac_f64_e32 v[20:21], v[20:21], v[22:23]
	v_div_scale_f64 v[22:23], vcc, 1.0, v[0:1], 1.0
	v_mul_f64 v[24:25], v[22:23], v[20:21]
	v_fma_f64 v[18:19], -v[18:19], v[24:25], v[22:23]
	s_nop 1
	v_div_fmas_f64 v[18:19], v[18:19], v[20:21], v[24:25]
	v_div_fixup_f64 v[0:1], v[18:19], v[0:1], 1.0
	v_mul_f64 v[2:3], v[2:3], -v[0:1]
.LBB0_24:                               ;   in Loop: Header=BB0_9 Depth=1
	s_cbranch_execnz .LBB0_26
.LBB0_25:                               ;   in Loop: Header=BB0_9 Depth=1
	s_add_i32 s10, s14, 1
	s_cmp_eq_u32 s24, 0
	s_cselect_b32 s24, s10, s24
	v_pk_mov_b32 v[0:1], v[4:5], v[4:5] op_sel:[0,1]
	v_pk_mov_b32 v[2:3], v[6:7], v[6:7] op_sel:[0,1]
	s_mov_b32 s34, s14
.LBB0_26:                               ;   in Loop: Header=BB0_9 Depth=1
	s_and_saveexec_b64 s[10:11], s[2:3]
	s_cbranch_execz .LBB0_28
; %bb.27:                               ;   in Loop: Header=BB0_9 Depth=1
	s_lshl_b64 s[12:13], s[14:15], 2
	s_add_u32 s12, s43, s12
	s_addc_u32 s13, s44, s13
	s_add_i32 s30, s46, s34
	v_mov_b32_e32 v4, s30
	global_store_dword v10, v4, s[12:13]
.LBB0_28:                               ;   in Loop: Header=BB0_9 Depth=1
	s_or_b64 exec, exec, s[10:11]
	v_cmp_eq_u32_e32 vcc, s34, v8
	v_cmp_ne_u32_e64 s[10:11], s34, v8
	s_and_saveexec_b64 s[12:13], s[10:11]
	s_cbranch_execz .LBB0_32
; %bb.29:                               ;   in Loop: Header=BB0_9 Depth=1
	ds_read2_b64 v[18:21], v28 offset1:1
	v_cmp_le_u32_e64 s[10:11], s14, v8
	s_and_b64 s[10:11], s[4:5], s[10:11]
	s_and_b64 s[10:11], s[0:1], s[10:11]
	s_waitcnt lgkmcnt(0)
	v_mul_f64 v[4:5], v[2:3], v[20:21]
	v_mul_f64 v[6:7], v[0:1], v[20:21]
	v_fma_f64 v[4:5], v[0:1], v[18:19], -v[4:5]
	v_fmac_f64_e32 v[6:7], v[2:3], v[18:19]
	s_and_saveexec_b64 s[36:37], s[10:11]
	s_cbranch_execz .LBB0_31
; %bb.30:                               ;   in Loop: Header=BB0_9 Depth=1
	s_mul_i32 s10, s14, s41
	v_add_u32_e32 v0, s10, v8
	v_ashrrev_i32_e32 v1, 31, v0
	v_lshlrev_b64 v[0:1], 4, v[0:1]
	v_mov_b32_e32 v2, s27
	v_add_co_u32_e64 v0, s[10:11], s26, v0
	v_addc_co_u32_e64 v1, s[10:11], v2, v1, s[10:11]
	global_store_dwordx4 v[0:1], v[4:7], off
.LBB0_31:                               ;   in Loop: Header=BB0_9 Depth=1
	s_or_b64 exec, exec, s[36:37]
	v_pk_mov_b32 v[0:1], v[4:5], v[4:5] op_sel:[0,1]
	v_pk_mov_b32 v[2:3], v[6:7], v[6:7] op_sel:[0,1]
.LBB0_32:                               ;   in Loop: Header=BB0_9 Depth=1
	s_or_b64 exec, exec, s[12:13]
	v_add_u32_e32 v18, s34, v29
	v_ashrrev_i32_e32 v19, 31, v18
	s_and_saveexec_b64 s[12:13], s[28:29]
	s_cbranch_execz .LBB0_35
; %bb.33:                               ;   in Loop: Header=BB0_9 Depth=1
	v_lshlrev_b64 v[4:5], 4, v[18:19]
	v_mov_b32_e32 v6, s27
	v_add_co_u32_e64 v4, s[10:11], s26, v4
	v_addc_co_u32_e64 v5, s[10:11], v6, v5, s[10:11]
	global_load_dwordx4 v[4:7], v[4:5], off
	v_cmp_eq_u32_e64 s[10:11], s14, v8
	s_waitcnt vmcnt(0)
	ds_write2_b64 v30, v[4:5], v[6:7] offset1:1
	s_and_b64 exec, exec, s[10:11]
	s_cbranch_execz .LBB0_35
; %bb.34:                               ;   in Loop: Header=BB0_9 Depth=1
	ds_write_b128 v10, v[0:3]
.LBB0_35:                               ;   in Loop: Header=BB0_9 Depth=1
	s_or_b64 exec, exec, s[12:13]
	s_cmp_lg_u32 s34, s14
	s_cselect_b64 s[10:11], -1, 0
	s_and_b64 s[10:11], s[28:29], s[10:11]
	s_waitcnt lgkmcnt(0)
	s_barrier
	s_and_saveexec_b64 s[36:37], s[10:11]
	s_cbranch_execz .LBB0_43
; %bb.36:                               ;   in Loop: Header=BB0_9 Depth=1
	v_add_u32_e32 v4, s14, v29
	v_ashrrev_i32_e32 v5, 31, v4
	v_lshlrev_b64 v[4:5], 4, v[4:5]
	v_mov_b32_e32 v6, s27
	v_add_co_u32_e64 v20, s[10:11], s26, v4
	v_addc_co_u32_e64 v21, s[10:11], v6, v5, s[10:11]
	v_mov_b32_e32 v4, s31
	v_cmp_ne_u32_e64 s[10:11], s14, v8
	v_cndmask_b32_e64 v5, v4, v21, s[10:11]
	v_cndmask_b32_e64 v4, 0, v20, s[10:11]
	flat_load_dwordx4 v[4:7], v[4:5]
	v_pk_mov_b32 v[22:23], 0, 0
	v_cmp_lt_u32_e64 s[12:13], s14, v8
	v_pk_mov_b32 v[24:25], v[22:23], v[22:23] op_sel:[0,1]
	s_and_saveexec_b64 s[38:39], s[12:13]
	s_cbranch_execz .LBB0_38
; %bb.37:                               ;   in Loop: Header=BB0_9 Depth=1
	ds_read2_b64 v[34:37], v30 offset1:1
	ds_read_b128 v[38:41], v10
	s_waitcnt lgkmcnt(0)
	v_mul_f64 v[24:25], v[36:37], v[40:41]
	v_mul_f64 v[22:23], v[34:35], v[40:41]
	v_fma_f64 v[24:25], v[34:35], v[38:39], -v[24:25]
	v_fmac_f64_e32 v[22:23], v[36:37], v[38:39]
.LBB0_38:                               ;   in Loop: Header=BB0_9 Depth=1
	s_or_b64 exec, exec, s[38:39]
	v_lshlrev_b64 v[18:19], 4, v[18:19]
	s_waitcnt vmcnt(0) lgkmcnt(0)
	v_add_f64 v[4:5], v[4:5], -v[24:25]
	v_add_f64 v[6:7], v[6:7], -v[22:23]
	v_mov_b32_e32 v11, s27
	ds_read2_b64 v[22:25], v30 offset1:1
	v_add_co_u32_e64 v18, s[12:13], s26, v18
	v_addc_co_u32_e64 v19, s[12:13], v11, v19, s[12:13]
	s_add_i32 s12, s14, 1
	v_cmp_eq_u32_e64 s[12:13], s12, v8
	global_store_dwordx4 v[18:19], v[4:7], off
	s_waitcnt lgkmcnt(0)
	global_store_dwordx4 v[20:21], v[22:25], off
	s_and_saveexec_b64 s[38:39], s[12:13]
	s_cbranch_execz .LBB0_40
; %bb.39:                               ;   in Loop: Header=BB0_9 Depth=1
	s_lshl_b32 s12, s34, 4
	s_add_i32 s12, s12, 16
	v_mov_b32_e32 v11, s12
	ds_write2_b64 v11, v[4:5], v[6:7] offset1:1
	v_xor_b32_e32 v11, 0x80000000, v5
	v_cmp_gt_f64_e64 s[12:13], 0, v[4:5]
	v_cndmask_b32_e64 v5, v5, v11, s[12:13]
	v_cndmask_b32_e64 v4, v4, v4, s[12:13]
	v_xor_b32_e32 v11, 0x80000000, v7
	v_cmp_gt_f64_e64 s[12:13], 0, v[6:7]
	v_cndmask_b32_e64 v7, v7, v11, s[12:13]
	v_cndmask_b32_e64 v6, v6, v6, s[12:13]
	s_lshl_b32 s12, s34, 3
	s_add_i32 s12, s33, s12
	v_add_f64 v[16:17], v[6:7], v[4:5]
	v_mov_b32_e32 v4, s12
	ds_write_b64 v4, v[16:17]
.LBB0_40:                               ;   in Loop: Header=BB0_9 Depth=1
	s_or_b64 exec, exec, s[38:39]
	s_or_b64 s[10:11], s[18:19], s[10:11]
	s_xor_b64 s[12:13], s[10:11], -1
	s_and_saveexec_b64 s[10:11], s[12:13]
	s_cbranch_execz .LBB0_42
; %bb.41:                               ;   in Loop: Header=BB0_9 Depth=1
	s_ashr_i32 s35, s34, 31
	s_lshl_b64 s[12:13], s[34:35], 2
	s_add_u32 s12, s22, s12
	s_addc_u32 s13, s23, s13
	v_pk_mov_b32 v[4:5], s[12:13], s[12:13] op_sel:[0,1]
	flat_load_dword v6, v[4:5]
	flat_load_dword v7, v[12:13]
	s_waitcnt vmcnt(0) lgkmcnt(0)
	flat_store_dword v[12:13], v6
	flat_store_dword v[4:5], v7
.LBB0_42:                               ;   in Loop: Header=BB0_9 Depth=1
	s_or_b64 exec, exec, s[10:11]
.LBB0_43:                               ;   in Loop: Header=BB0_9 Depth=1
	s_or_b64 exec, exec, s[36:37]
	v_cmp_ge_u32_e64 s[10:11], s14, v8
	s_or_b64 s[12:13], s[6:7], s[10:11]
	s_or_b64 s[12:13], s[12:13], vcc
	s_xor_b64 s[34:35], s[12:13], -1
	s_and_saveexec_b64 s[12:13], s[34:35]
	s_cbranch_execnz .LBB0_46
; %bb.44:                               ;   in Loop: Header=BB0_9 Depth=1
	s_or_b64 exec, exec, s[12:13]
	s_and_b64 s[12:13], s[0:1], s[10:11]
	s_and_saveexec_b64 s[10:11], s[12:13]
	s_cbranch_execnz .LBB0_52
.LBB0_45:                               ;   in Loop: Header=BB0_9 Depth=1
	s_or_b64 exec, exec, s[10:11]
	s_and_saveexec_b64 s[10:11], s[0:1]
	s_cbranch_execz .LBB0_8
	s_branch .LBB0_53
.LBB0_46:                               ;   in Loop: Header=BB0_9 Depth=1
	v_add_u32_e32 v6, s14, v31
	v_cmp_gt_i32_e32 vcc, s25, v6
	s_and_saveexec_b64 s[34:35], vcc
	s_cbranch_execz .LBB0_49
; %bb.47:                               ;   in Loop: Header=BB0_9 Depth=1
	s_mov_b64 s[36:37], 0
	v_mov_b32_e32 v7, v15
	v_mov_b32_e32 v4, v14
.LBB0_48:                               ;   Parent Loop BB0_9 Depth=1
                                        ; =>  This Inner Loop Header: Depth=2
	v_ashrrev_i32_e32 v5, 31, v4
	v_lshlrev_b64 v[18:19], 4, v[4:5]
	v_mov_b32_e32 v11, s27
	v_add_co_u32_e32 v34, vcc, s26, v18
	v_addc_co_u32_e32 v35, vcc, v11, v19, vcc
	global_load_dwordx4 v[18:21], v[34:35], off
	ds_read2_b64 v[22:25], v7 offset1:1
	v_add_u32_e32 v6, s42, v6
	v_cmp_le_i32_e32 vcc, s25, v6
	v_add_u32_e32 v7, s50, v7
	v_add_u32_e32 v4, s49, v4
	s_waitcnt lgkmcnt(0)
	v_mul_f64 v[36:37], v[2:3], v[24:25]
	v_mul_f64 v[24:25], v[0:1], v[24:25]
	v_fma_f64 v[36:37], v[0:1], v[22:23], -v[36:37]
	v_fmac_f64_e32 v[24:25], v[2:3], v[22:23]
	s_or_b64 s[36:37], vcc, s[36:37]
	s_waitcnt vmcnt(0)
	v_add_f64 v[18:19], v[18:19], -v[36:37]
	v_add_f64 v[20:21], v[20:21], -v[24:25]
	global_store_dwordx4 v[34:35], v[18:21], off
	s_andn2_b64 exec, exec, s[36:37]
	s_cbranch_execnz .LBB0_48
.LBB0_49:                               ;   in Loop: Header=BB0_9 Depth=1
	s_or_b64 exec, exec, s[34:35]
	s_cmp_lt_i32 s14, s47
	s_cselect_b64 s[34:35], -1, 0
	s_and_b64 s[36:37], s[0:1], s[34:35]
	s_and_saveexec_b64 s[34:35], s[36:37]
	s_cbranch_execz .LBB0_51
; %bb.50:                               ;   in Loop: Header=BB0_9 Depth=1
	s_add_i32 s30, s14, 1
	s_mul_i32 s30, s30, s41
	v_add_u32_e32 v4, s30, v8
	v_ashrrev_i32_e32 v5, 31, v4
	v_lshlrev_b64 v[4:5], 4, v[4:5]
	v_mov_b32_e32 v6, s27
	v_add_co_u32_e32 v20, vcc, s26, v4
	v_addc_co_u32_e32 v21, vcc, v6, v5, vcc
	global_load_dwordx4 v[4:7], v[20:21], off
	s_lshl_b32 s30, s14, 4
	s_add_i32 s30, s48, s30
	v_mov_b32_e32 v11, s30
	ds_read2_b64 v[16:19], v11 offset1:1
	s_waitcnt lgkmcnt(0)
	v_mul_f64 v[22:23], v[2:3], v[18:19]
	v_mul_f64 v[18:19], v[0:1], v[18:19]
	v_fma_f64 v[0:1], v[0:1], v[16:17], -v[22:23]
	v_fmac_f64_e32 v[18:19], v[2:3], v[16:17]
	s_waitcnt vmcnt(0)
	v_add_f64 v[0:1], v[4:5], -v[0:1]
	v_add_f64 v[2:3], v[6:7], -v[18:19]
	v_xor_b32_e32 v4, 0x80000000, v1
	v_cmp_gt_f64_e32 vcc, 0, v[0:1]
	global_store_dwordx4 v[20:21], v[0:3], off
	ds_write2_b64 v28, v[0:1], v[2:3] offset1:1
	v_xor_b32_e32 v5, 0x80000000, v3
	v_cndmask_b32_e32 v1, v1, v4, vcc
	v_cndmask_b32_e32 v0, v0, v0, vcc
	v_cmp_gt_f64_e32 vcc, 0, v[2:3]
	v_cndmask_b32_e32 v3, v3, v5, vcc
	v_cndmask_b32_e32 v2, v2, v2, vcc
	v_add_f64 v[16:17], v[0:1], v[2:3]
	ds_write_b64 v26, v[16:17]
.LBB0_51:                               ;   in Loop: Header=BB0_9 Depth=1
	s_or_b64 exec, exec, s[34:35]
	s_or_b64 exec, exec, s[12:13]
	s_and_b64 s[12:13], s[0:1], s[10:11]
	s_and_saveexec_b64 s[10:11], s[12:13]
	s_cbranch_execz .LBB0_45
.LBB0_52:                               ;   in Loop: Header=BB0_9 Depth=1
	s_mov_b32 s12, s15
	s_mov_b32 s13, s15
	s_mov_b32 s34, s15
	s_mov_b32 s35, s15
	v_pk_mov_b32 v[0:1], s[12:13], s[12:13] op_sel:[0,1]
	v_pk_mov_b32 v[2:3], s[34:35], s[34:35] op_sel:[0,1]
	v_mov_b32_e32 v11, v10
	v_pk_mov_b32 v[16:17], 0, 0
	ds_write2_b64 v28, v[0:1], v[2:3] offset1:1
	ds_write_b64 v26, v[10:11]
	s_or_b64 exec, exec, s[10:11]
	s_and_saveexec_b64 s[10:11], s[0:1]
	s_cbranch_execz .LBB0_8
.LBB0_53:                               ;   in Loop: Header=BB0_9 Depth=1
	ds_write_b32 v27, v8
	s_branch .LBB0_8
.LBB0_54:
	s_mov_b32 s24, 0
.LBB0_55:
	v_cmp_eq_u32_e32 vcc, 0, v8
	s_and_saveexec_b64 s[0:1], vcc
	s_cbranch_execz .LBB0_58
; %bb.56:
	s_lshl_b64 s[0:1], s[16:17], 2
	s_add_u32 s0, s20, s0
	s_addc_u32 s1, s21, s1
	v_mov_b32_e32 v0, 0
	global_load_dword v1, v0, s[0:1]
	s_cmp_gt_i32 s24, 0
	s_cselect_b64 s[2:3], -1, 0
	s_waitcnt vmcnt(0)
	v_or_b32_e32 v1, v1, v9
	v_cmp_eq_u32_e32 vcc, 0, v1
	s_and_b64 s[2:3], vcc, s[2:3]
	s_and_b64 exec, exec, s[2:3]
	s_cbranch_execz .LBB0_58
; %bb.57:
	s_waitcnt lgkmcnt(0)
	s_add_i32 s2, s24, s40
	v_mov_b32_e32 v1, s2
	global_store_dword v0, v1, s[0:1]
.LBB0_58:
	s_endpgm
	.section	.rodata,"a",@progbits
	.p2align	6, 0x0
	.amdhsa_kernel _ZN9rocsolver6v33100L18getf2_panel_kernelI19rocblas_complex_numIdEiiPS3_EEvT0_S5_T2_lS5_lPS5_llPT1_S5_S5_S7_l
		.amdhsa_group_segment_fixed_size 16
		.amdhsa_private_segment_fixed_size 0
		.amdhsa_kernarg_size 352
		.amdhsa_user_sgpr_count 6
		.amdhsa_user_sgpr_private_segment_buffer 1
		.amdhsa_user_sgpr_dispatch_ptr 0
		.amdhsa_user_sgpr_queue_ptr 0
		.amdhsa_user_sgpr_kernarg_segment_ptr 1
		.amdhsa_user_sgpr_dispatch_id 0
		.amdhsa_user_sgpr_flat_scratch_init 0
		.amdhsa_user_sgpr_kernarg_preload_length 0
		.amdhsa_user_sgpr_kernarg_preload_offset 0
		.amdhsa_user_sgpr_private_segment_size 0
		.amdhsa_uses_dynamic_stack 0
		.amdhsa_system_sgpr_private_segment_wavefront_offset 0
		.amdhsa_system_sgpr_workgroup_id_x 1
		.amdhsa_system_sgpr_workgroup_id_y 0
		.amdhsa_system_sgpr_workgroup_id_z 1
		.amdhsa_system_sgpr_workgroup_info 0
		.amdhsa_system_vgpr_workitem_id 1
		.amdhsa_next_free_vgpr 42
		.amdhsa_next_free_sgpr 51
		.amdhsa_accum_offset 44
		.amdhsa_reserve_vcc 1
		.amdhsa_reserve_flat_scratch 0
		.amdhsa_float_round_mode_32 0
		.amdhsa_float_round_mode_16_64 0
		.amdhsa_float_denorm_mode_32 3
		.amdhsa_float_denorm_mode_16_64 3
		.amdhsa_dx10_clamp 1
		.amdhsa_ieee_mode 1
		.amdhsa_fp16_overflow 0
		.amdhsa_tg_split 0
		.amdhsa_exception_fp_ieee_invalid_op 0
		.amdhsa_exception_fp_denorm_src 0
		.amdhsa_exception_fp_ieee_div_zero 0
		.amdhsa_exception_fp_ieee_overflow 0
		.amdhsa_exception_fp_ieee_underflow 0
		.amdhsa_exception_fp_ieee_inexact 0
		.amdhsa_exception_int_div_zero 0
	.end_amdhsa_kernel
	.section	.text._ZN9rocsolver6v33100L18getf2_panel_kernelI19rocblas_complex_numIdEiiPS3_EEvT0_S5_T2_lS5_lPS5_llPT1_S5_S5_S7_l,"axG",@progbits,_ZN9rocsolver6v33100L18getf2_panel_kernelI19rocblas_complex_numIdEiiPS3_EEvT0_S5_T2_lS5_lPS5_llPT1_S5_S5_S7_l,comdat
.Lfunc_end0:
	.size	_ZN9rocsolver6v33100L18getf2_panel_kernelI19rocblas_complex_numIdEiiPS3_EEvT0_S5_T2_lS5_lPS5_llPT1_S5_S5_S7_l, .Lfunc_end0-_ZN9rocsolver6v33100L18getf2_panel_kernelI19rocblas_complex_numIdEiiPS3_EEvT0_S5_T2_lS5_lPS5_llPT1_S5_S5_S7_l
                                        ; -- End function
	.section	.AMDGPU.csdata,"",@progbits
; Kernel info:
; codeLenInByte = 2792
; NumSgprs: 55
; NumVgprs: 42
; NumAgprs: 0
; TotalNumVgprs: 42
; ScratchSize: 0
; MemoryBound: 1
; FloatMode: 240
; IeeeMode: 1
; LDSByteSize: 16 bytes/workgroup (compile time only)
; SGPRBlocks: 6
; VGPRBlocks: 5
; NumSGPRsForWavesPerEU: 55
; NumVGPRsForWavesPerEU: 42
; AccumOffset: 44
; Occupancy: 8
; WaveLimiterHint : 0
; COMPUTE_PGM_RSRC2:SCRATCH_EN: 0
; COMPUTE_PGM_RSRC2:USER_SGPR: 6
; COMPUTE_PGM_RSRC2:TRAP_HANDLER: 0
; COMPUTE_PGM_RSRC2:TGID_X_EN: 1
; COMPUTE_PGM_RSRC2:TGID_Y_EN: 0
; COMPUTE_PGM_RSRC2:TGID_Z_EN: 1
; COMPUTE_PGM_RSRC2:TIDIG_COMP_CNT: 1
; COMPUTE_PGM_RSRC3_GFX90A:ACCUM_OFFSET: 10
; COMPUTE_PGM_RSRC3_GFX90A:TG_SPLIT: 0
	.section	.text._ZN9rocsolver6v33100L23getf2_npvt_panel_kernelI19rocblas_complex_numIdEiiPS3_EEvT0_S5_T2_lS5_lPT1_S5_S5_,"axG",@progbits,_ZN9rocsolver6v33100L23getf2_npvt_panel_kernelI19rocblas_complex_numIdEiiPS3_EEvT0_S5_T2_lS5_lPT1_S5_S5_,comdat
	.globl	_ZN9rocsolver6v33100L23getf2_npvt_panel_kernelI19rocblas_complex_numIdEiiPS3_EEvT0_S5_T2_lS5_lPT1_S5_S5_ ; -- Begin function _ZN9rocsolver6v33100L23getf2_npvt_panel_kernelI19rocblas_complex_numIdEiiPS3_EEvT0_S5_T2_lS5_lPT1_S5_S5_
	.p2align	8
	.type	_ZN9rocsolver6v33100L23getf2_npvt_panel_kernelI19rocblas_complex_numIdEiiPS3_EEvT0_S5_T2_lS5_lPT1_S5_S5_,@function
_ZN9rocsolver6v33100L23getf2_npvt_panel_kernelI19rocblas_complex_numIdEiiPS3_EEvT0_S5_T2_lS5_lPT1_S5_S5_: ; @_ZN9rocsolver6v33100L23getf2_npvt_panel_kernelI19rocblas_complex_numIdEiiPS3_EEvT0_S5_T2_lS5_lPT1_S5_S5_
; %bb.0:
	s_load_dwordx2 s[14:15], s[4:5], 0x0
	s_load_dwordx4 s[0:3], s[4:5], 0x8
	s_load_dwordx4 s[8:11], s[4:5], 0x20
	s_mov_b32 s12, s7
	s_ashr_i32 s13, s7, 31
	s_load_dword s16, s[4:5], 0x44
	v_bfe_u32 v5, v0, 10, 10
	s_waitcnt lgkmcnt(0)
	s_mul_i32 s6, s7, s9
	s_mul_hi_u32 s7, s7, s8
	s_add_i32 s6, s7, s6
	s_mul_i32 s7, s13, s8
	s_add_i32 s7, s6, s7
	s_mul_i32 s6, s12, s8
	s_lshl_b64 s[6:7], s[6:7], 4
	s_add_u32 s6, s0, s6
	s_addc_u32 s7, s1, s7
	s_lshl_b64 s[0:1], s[2:3], 4
	s_add_u32 s8, s6, s0
	v_and_b32_e32 v4, 0x3ff, v0
	s_addc_u32 s9, s7, s1
	v_cmp_eq_u32_e64 s[0:1], 0, v5
	s_and_saveexec_b64 s[2:3], s[0:1]
	s_cbranch_execz .LBB1_4
; %bb.1:
	v_pk_mov_b32 v[0:1], 0, 0
	v_cmp_gt_i32_e32 vcc, s14, v4
	v_pk_mov_b32 v[2:3], v[0:1], v[0:1] op_sel:[0,1]
	s_and_saveexec_b64 s[6:7], vcc
	s_cbranch_execz .LBB1_3
; %bb.2:
	v_lshlrev_b32_e32 v0, 4, v4
	global_load_dwordx4 v[0:3], v0, s[8:9]
.LBB1_3:
	s_or_b64 exec, exec, s[6:7]
	v_lshl_add_u32 v6, v4, 4, 0
	s_waitcnt vmcnt(0)
	ds_write2_b64 v6, v[0:1], v[2:3] offset1:1
.LBB1_4:
	s_or_b64 exec, exec, s[2:3]
	s_cmp_lt_i32 s15, 1
	s_cbranch_scc1 .LBB1_29
; %bb.5:
	s_load_dword s24, s[4:5], 0x18
	s_and_b32 s2, s16, 0xffff
	s_lshl_b32 s2, s2, 4
	s_add_i32 s17, s2, 0
	v_lshlrev_b32_e32 v0, 4, v4
	v_add_u32_e32 v15, 2, v5
	s_lshr_b32 s25, s16, 16
	v_add_u32_e32 v12, 0, v0
	v_cmp_gt_u32_e32 vcc, s15, v4
	v_add_u32_e32 v14, s17, v0
	s_waitcnt lgkmcnt(0)
	v_mad_u64_u32 v[6:7], s[6:7], s24, v15, v[4:5]
	v_lshlrev_b32_e32 v0, 4, v5
	s_mov_b32 s16, 0
	v_cmp_gt_i32_e64 s[2:3], s14, v4
	s_and_b64 s[18:19], s[0:1], vcc
	v_mul_lo_u32 v13, v4, s24
	s_add_i32 s26, s15, -1
	s_add_i32 s27, s17, 16
	s_mul_i32 s28, s24, s25
	v_add3_u32 v7, s17, v0, 32
	s_lshl_b32 s29, s25, 4
	s_mov_b32 s14, 0
	s_mov_b32 s30, 0
	s_branch .LBB1_7
.LBB1_6:                                ;   in Loop: Header=BB1_7 Depth=1
	s_or_b64 exec, exec, s[6:7]
	s_add_i32 s30, s30, 1
	v_add_u32_e32 v6, s24, v6
	s_cmp_eq_u32 s30, s15
	v_add_u32_e32 v7, 16, v7
	s_cbranch_scc1 .LBB1_30
.LBB1_7:                                ; =>This Loop Header: Depth=1
                                        ;     Child Loop BB1_21 Depth 2
	s_lshl_b32 s17, s30, 4
	s_add_i32 s6, s17, 0
	v_mov_b32_e32 v0, s6
	s_barrier
	ds_read2_b64 v[0:3], v0 offset1:1
	s_waitcnt lgkmcnt(0)
	v_cmp_eq_f64_e32 vcc, 0, v[0:1]
	v_cmp_eq_f64_e64 s[6:7], 0, v[2:3]
	s_and_b64 s[6:7], vcc, s[6:7]
	s_cmp_eq_u32 s14, 0
	s_cselect_b64 s[20:21], -1, 0
	s_and_b64 s[6:7], s[6:7], s[20:21]
	s_andn2_b64 vcc, exec, s[6:7]
	s_cbranch_vccz .LBB1_10
; %bb.8:                                ;   in Loop: Header=BB1_7 Depth=1
	v_xor_b32_e32 v8, 0x80000000, v1
	v_cmp_gt_f64_e32 vcc, 0, v[0:1]
	v_cndmask_b32_e32 v9, v1, v8, vcc
	v_xor_b32_e32 v10, 0x80000000, v3
	v_cmp_gt_f64_e32 vcc, 0, v[2:3]
	v_mov_b32_e32 v8, v0
	v_cndmask_b32_e32 v11, v3, v10, vcc
	v_mov_b32_e32 v10, v2
	v_cmp_ngt_f64_e32 vcc, v[8:9], v[10:11]
	s_cbranch_vccz .LBB1_11
; %bb.9:                                ;   in Loop: Header=BB1_7 Depth=1
	v_div_scale_f64 v[8:9], s[6:7], v[2:3], v[2:3], v[0:1]
	v_rcp_f64_e32 v[10:11], v[8:9]
	v_div_scale_f64 v[16:17], vcc, v[0:1], v[2:3], v[0:1]
	v_fma_f64 v[18:19], -v[8:9], v[10:11], 1.0
	v_fmac_f64_e32 v[10:11], v[10:11], v[18:19]
	v_fma_f64 v[18:19], -v[8:9], v[10:11], 1.0
	v_fmac_f64_e32 v[10:11], v[10:11], v[18:19]
	v_mul_f64 v[18:19], v[16:17], v[10:11]
	v_fma_f64 v[8:9], -v[8:9], v[18:19], v[16:17]
	v_div_fmas_f64 v[8:9], v[8:9], v[10:11], v[18:19]
	v_div_fixup_f64 v[10:11], v[8:9], v[2:3], v[0:1]
	v_fma_f64 v[8:9], v[0:1], v[10:11], v[2:3]
	v_div_scale_f64 v[16:17], s[6:7], v[8:9], v[8:9], 1.0
	v_rcp_f64_e32 v[18:19], v[16:17]
	v_fma_f64 v[20:21], -v[16:17], v[18:19], 1.0
	v_fmac_f64_e32 v[18:19], v[18:19], v[20:21]
	v_fma_f64 v[20:21], -v[16:17], v[18:19], 1.0
	v_fmac_f64_e32 v[18:19], v[18:19], v[20:21]
	v_div_scale_f64 v[20:21], vcc, 1.0, v[8:9], 1.0
	v_mul_f64 v[22:23], v[20:21], v[18:19]
	v_fma_f64 v[16:17], -v[16:17], v[22:23], v[20:21]
	s_nop 1
	v_div_fmas_f64 v[16:17], v[16:17], v[18:19], v[22:23]
	v_div_fixup_f64 v[8:9], v[16:17], v[8:9], 1.0
	v_mul_f64 v[10:11], v[10:11], v[8:9]
	v_xor_b32_e32 v9, 0x80000000, v9
	s_cbranch_execz .LBB1_12
	s_branch .LBB1_13
.LBB1_10:                               ;   in Loop: Header=BB1_7 Depth=1
                                        ; implicit-def: $sgpr14
                                        ; implicit-def: $vgpr8_vgpr9
                                        ; implicit-def: $vgpr10_vgpr11
	s_branch .LBB1_14
.LBB1_11:                               ;   in Loop: Header=BB1_7 Depth=1
                                        ; implicit-def: $vgpr8_vgpr9
                                        ; implicit-def: $vgpr10_vgpr11
.LBB1_12:                               ;   in Loop: Header=BB1_7 Depth=1
	v_div_scale_f64 v[8:9], s[6:7], v[0:1], v[0:1], v[2:3]
	v_rcp_f64_e32 v[10:11], v[8:9]
	v_div_scale_f64 v[16:17], vcc, v[2:3], v[0:1], v[2:3]
	v_fma_f64 v[18:19], -v[8:9], v[10:11], 1.0
	v_fmac_f64_e32 v[10:11], v[10:11], v[18:19]
	v_fma_f64 v[18:19], -v[8:9], v[10:11], 1.0
	v_fmac_f64_e32 v[10:11], v[10:11], v[18:19]
	v_mul_f64 v[18:19], v[16:17], v[10:11]
	v_fma_f64 v[8:9], -v[8:9], v[18:19], v[16:17]
	v_div_fmas_f64 v[8:9], v[8:9], v[10:11], v[18:19]
	v_div_fixup_f64 v[8:9], v[8:9], v[0:1], v[2:3]
	v_fma_f64 v[10:11], v[2:3], v[8:9], v[0:1]
	v_div_scale_f64 v[16:17], s[6:7], v[10:11], v[10:11], 1.0
	v_rcp_f64_e32 v[18:19], v[16:17]
	v_fma_f64 v[20:21], -v[16:17], v[18:19], 1.0
	v_fmac_f64_e32 v[18:19], v[18:19], v[20:21]
	v_fma_f64 v[20:21], -v[16:17], v[18:19], 1.0
	v_fmac_f64_e32 v[18:19], v[18:19], v[20:21]
	v_div_scale_f64 v[20:21], vcc, 1.0, v[10:11], 1.0
	v_mul_f64 v[22:23], v[20:21], v[18:19]
	v_fma_f64 v[16:17], -v[16:17], v[22:23], v[20:21]
	s_nop 1
	v_div_fmas_f64 v[16:17], v[16:17], v[18:19], v[22:23]
	v_div_fixup_f64 v[10:11], v[16:17], v[10:11], 1.0
	v_mul_f64 v[8:9], v[8:9], -v[10:11]
.LBB1_13:                               ;   in Loop: Header=BB1_7 Depth=1
	s_cbranch_execnz .LBB1_15
.LBB1_14:                               ;   in Loop: Header=BB1_7 Depth=1
	s_add_i32 s14, s30, 1
	v_pk_mov_b32 v[10:11], v[0:1], v[0:1] op_sel:[0,1]
	v_pk_mov_b32 v[8:9], v[2:3], v[2:3] op_sel:[0,1]
.LBB1_15:                               ;   in Loop: Header=BB1_7 Depth=1
	v_cmp_ne_u32_e32 vcc, s30, v4
	s_and_saveexec_b64 s[6:7], vcc
	s_cbranch_execnz .LBB1_26
; %bb.16:                               ;   in Loop: Header=BB1_7 Depth=1
	s_or_b64 exec, exec, s[6:7]
	s_and_saveexec_b64 s[6:7], s[18:19]
	s_cbranch_execz .LBB1_18
.LBB1_17:                               ;   in Loop: Header=BB1_7 Depth=1
	v_add_u32_e32 v0, s30, v13
	v_ashrrev_i32_e32 v1, 31, v0
	v_lshlrev_b64 v[0:1], 4, v[0:1]
	v_mov_b32_e32 v2, s9
	v_add_co_u32_e32 v0, vcc, s8, v0
	v_addc_co_u32_e32 v1, vcc, v2, v1, vcc
	global_load_dwordx4 v[0:3], v[0:1], off
	s_waitcnt vmcnt(0)
	ds_write2_b64 v14, v[0:1], v[2:3] offset1:1
.LBB1_18:                               ;   in Loop: Header=BB1_7 Depth=1
	s_or_b64 exec, exec, s[6:7]
	v_cmp_lt_u32_e32 vcc, s30, v4
	s_and_b64 s[20:21], s[2:3], vcc
	s_waitcnt lgkmcnt(0)
	s_barrier
	s_and_saveexec_b64 s[6:7], s[20:21]
	s_cbranch_execz .LBB1_24
; %bb.19:                               ;   in Loop: Header=BB1_7 Depth=1
	v_add_u32_e32 v2, s30, v15
	v_cmp_gt_i32_e32 vcc, s15, v2
	s_and_saveexec_b64 s[20:21], vcc
	s_cbranch_execz .LBB1_22
; %bb.20:                               ;   in Loop: Header=BB1_7 Depth=1
	s_mov_b64 s[22:23], 0
	v_mov_b32_e32 v3, v7
	v_mov_b32_e32 v0, v6
.LBB1_21:                               ;   Parent Loop BB1_7 Depth=1
                                        ; =>  This Inner Loop Header: Depth=2
	v_ashrrev_i32_e32 v1, 31, v0
	v_lshlrev_b64 v[16:17], 4, v[0:1]
	v_mov_b32_e32 v18, s9
	v_add_co_u32_e32 v24, vcc, s8, v16
	v_addc_co_u32_e32 v25, vcc, v18, v17, vcc
	global_load_dwordx4 v[16:19], v[24:25], off
	ds_read2_b64 v[20:23], v3 offset1:1
	v_add_u32_e32 v2, s25, v2
	v_cmp_le_i32_e32 vcc, s15, v2
	v_add_u32_e32 v3, s29, v3
	v_add_u32_e32 v0, s28, v0
	s_waitcnt lgkmcnt(0)
	v_mul_f64 v[26:27], v[8:9], v[22:23]
	v_mul_f64 v[22:23], v[10:11], v[22:23]
	v_fma_f64 v[26:27], v[10:11], v[20:21], -v[26:27]
	v_fmac_f64_e32 v[22:23], v[8:9], v[20:21]
	s_or_b64 s[22:23], vcc, s[22:23]
	s_waitcnt vmcnt(0)
	v_add_f64 v[16:17], v[16:17], -v[26:27]
	v_add_f64 v[18:19], v[18:19], -v[22:23]
	global_store_dwordx4 v[24:25], v[16:19], off
	s_andn2_b64 exec, exec, s[22:23]
	s_cbranch_execnz .LBB1_21
.LBB1_22:                               ;   in Loop: Header=BB1_7 Depth=1
	s_or_b64 exec, exec, s[20:21]
	s_cmp_lt_i32 s30, s26
	s_cselect_b64 s[20:21], -1, 0
	s_and_b64 s[20:21], s[0:1], s[20:21]
	s_and_b64 exec, exec, s[20:21]
	s_cbranch_execz .LBB1_24
; %bb.23:                               ;   in Loop: Header=BB1_7 Depth=1
	s_add_i32 s20, s30, 1
	s_mul_i32 s20, s20, s24
	v_add_u32_e32 v0, s20, v4
	v_ashrrev_i32_e32 v1, 31, v0
	v_lshlrev_b64 v[0:1], 4, v[0:1]
	v_mov_b32_e32 v2, s9
	v_add_co_u32_e32 v20, vcc, s8, v0
	v_addc_co_u32_e32 v21, vcc, v2, v1, vcc
	global_load_dwordx4 v[0:3], v[20:21], off
	s_add_i32 s17, s27, s17
	v_mov_b32_e32 v16, s17
	ds_read2_b64 v[16:19], v16 offset1:1
	s_waitcnt lgkmcnt(0)
	v_mul_f64 v[22:23], v[8:9], v[18:19]
	v_mul_f64 v[18:19], v[10:11], v[18:19]
	v_fma_f64 v[10:11], v[10:11], v[16:17], -v[22:23]
	v_fmac_f64_e32 v[18:19], v[8:9], v[16:17]
	s_waitcnt vmcnt(0)
	v_add_f64 v[0:1], v[0:1], -v[10:11]
	v_add_f64 v[2:3], v[2:3], -v[18:19]
	global_store_dwordx4 v[20:21], v[0:3], off
	ds_write2_b64 v12, v[0:1], v[2:3] offset1:1
.LBB1_24:                               ;   in Loop: Header=BB1_7 Depth=1
	s_or_b64 exec, exec, s[6:7]
	v_cmp_ge_u32_e32 vcc, s30, v4
	s_and_b64 s[20:21], s[0:1], vcc
	s_and_saveexec_b64 s[6:7], s[20:21]
	s_cbranch_execz .LBB1_6
; %bb.25:                               ;   in Loop: Header=BB1_7 Depth=1
	s_mov_b32 s17, s16
	s_mov_b32 s20, s16
	;; [unrolled: 1-line block ×3, first 2 shown]
	v_pk_mov_b32 v[0:1], s[16:17], s[16:17] op_sel:[0,1]
	v_pk_mov_b32 v[2:3], s[20:21], s[20:21] op_sel:[0,1]
	ds_write2_b64 v12, v[0:1], v[2:3] offset1:1
	s_branch .LBB1_6
.LBB1_26:                               ;   in Loop: Header=BB1_7 Depth=1
	ds_read2_b64 v[16:19], v12 offset1:1
	v_cmp_le_u32_e32 vcc, s30, v4
	s_and_b64 s[20:21], s[2:3], vcc
	s_and_b64 s[22:23], s[0:1], s[20:21]
	s_waitcnt lgkmcnt(0)
	v_mul_f64 v[0:1], v[8:9], v[18:19]
	v_mul_f64 v[2:3], v[10:11], v[18:19]
	v_fma_f64 v[0:1], v[10:11], v[16:17], -v[0:1]
	v_fmac_f64_e32 v[2:3], v[8:9], v[16:17]
	s_and_saveexec_b64 s[20:21], s[22:23]
	s_cbranch_execz .LBB1_28
; %bb.27:                               ;   in Loop: Header=BB1_7 Depth=1
	s_mul_i32 s22, s30, s24
	v_add_u32_e32 v8, s22, v4
	v_ashrrev_i32_e32 v9, 31, v8
	v_lshlrev_b64 v[8:9], 4, v[8:9]
	v_mov_b32_e32 v10, s9
	v_add_co_u32_e32 v8, vcc, s8, v8
	v_addc_co_u32_e32 v9, vcc, v10, v9, vcc
	global_store_dwordx4 v[8:9], v[0:3], off
.LBB1_28:                               ;   in Loop: Header=BB1_7 Depth=1
	s_or_b64 exec, exec, s[20:21]
	v_pk_mov_b32 v[10:11], v[0:1], v[0:1] op_sel:[0,1]
	v_pk_mov_b32 v[8:9], v[2:3], v[2:3] op_sel:[0,1]
	s_or_b64 exec, exec, s[6:7]
	s_and_saveexec_b64 s[6:7], s[18:19]
	s_cbranch_execnz .LBB1_17
	s_branch .LBB1_18
.LBB1_29:
	s_mov_b32 s14, 0
.LBB1_30:
	v_cmp_eq_u32_e32 vcc, 0, v4
	s_and_saveexec_b64 s[0:1], vcc
	s_cbranch_execz .LBB1_33
; %bb.31:
	s_lshl_b64 s[0:1], s[12:13], 2
	s_add_u32 s0, s10, s0
	s_addc_u32 s1, s11, s1
	v_mov_b32_e32 v0, 0
	global_load_dword v1, v0, s[0:1]
	s_cmp_gt_i32 s14, 0
	s_cselect_b64 s[2:3], -1, 0
	s_waitcnt vmcnt(0)
	v_or_b32_e32 v1, v1, v5
	v_cmp_eq_u32_e32 vcc, 0, v1
	s_and_b64 s[2:3], vcc, s[2:3]
	s_and_b64 exec, exec, s[2:3]
	s_cbranch_execz .LBB1_33
; %bb.32:
	s_load_dword s2, s[4:5], 0x34
	s_waitcnt lgkmcnt(0)
	s_add_i32 s2, s14, s2
	v_mov_b32_e32 v1, s2
	global_store_dword v0, v1, s[0:1]
.LBB1_33:
	s_endpgm
	.section	.rodata,"a",@progbits
	.p2align	6, 0x0
	.amdhsa_kernel _ZN9rocsolver6v33100L23getf2_npvt_panel_kernelI19rocblas_complex_numIdEiiPS3_EEvT0_S5_T2_lS5_lPT1_S5_S5_
		.amdhsa_group_segment_fixed_size 0
		.amdhsa_private_segment_fixed_size 0
		.amdhsa_kernarg_size 312
		.amdhsa_user_sgpr_count 6
		.amdhsa_user_sgpr_private_segment_buffer 1
		.amdhsa_user_sgpr_dispatch_ptr 0
		.amdhsa_user_sgpr_queue_ptr 0
		.amdhsa_user_sgpr_kernarg_segment_ptr 1
		.amdhsa_user_sgpr_dispatch_id 0
		.amdhsa_user_sgpr_flat_scratch_init 0
		.amdhsa_user_sgpr_kernarg_preload_length 0
		.amdhsa_user_sgpr_kernarg_preload_offset 0
		.amdhsa_user_sgpr_private_segment_size 0
		.amdhsa_uses_dynamic_stack 0
		.amdhsa_system_sgpr_private_segment_wavefront_offset 0
		.amdhsa_system_sgpr_workgroup_id_x 1
		.amdhsa_system_sgpr_workgroup_id_y 0
		.amdhsa_system_sgpr_workgroup_id_z 1
		.amdhsa_system_sgpr_workgroup_info 0
		.amdhsa_system_vgpr_workitem_id 1
		.amdhsa_next_free_vgpr 28
		.amdhsa_next_free_sgpr 31
		.amdhsa_accum_offset 28
		.amdhsa_reserve_vcc 1
		.amdhsa_reserve_flat_scratch 0
		.amdhsa_float_round_mode_32 0
		.amdhsa_float_round_mode_16_64 0
		.amdhsa_float_denorm_mode_32 3
		.amdhsa_float_denorm_mode_16_64 3
		.amdhsa_dx10_clamp 1
		.amdhsa_ieee_mode 1
		.amdhsa_fp16_overflow 0
		.amdhsa_tg_split 0
		.amdhsa_exception_fp_ieee_invalid_op 0
		.amdhsa_exception_fp_denorm_src 0
		.amdhsa_exception_fp_ieee_div_zero 0
		.amdhsa_exception_fp_ieee_overflow 0
		.amdhsa_exception_fp_ieee_underflow 0
		.amdhsa_exception_fp_ieee_inexact 0
		.amdhsa_exception_int_div_zero 0
	.end_amdhsa_kernel
	.section	.text._ZN9rocsolver6v33100L23getf2_npvt_panel_kernelI19rocblas_complex_numIdEiiPS3_EEvT0_S5_T2_lS5_lPT1_S5_S5_,"axG",@progbits,_ZN9rocsolver6v33100L23getf2_npvt_panel_kernelI19rocblas_complex_numIdEiiPS3_EEvT0_S5_T2_lS5_lPT1_S5_S5_,comdat
.Lfunc_end1:
	.size	_ZN9rocsolver6v33100L23getf2_npvt_panel_kernelI19rocblas_complex_numIdEiiPS3_EEvT0_S5_T2_lS5_lPT1_S5_S5_, .Lfunc_end1-_ZN9rocsolver6v33100L23getf2_npvt_panel_kernelI19rocblas_complex_numIdEiiPS3_EEvT0_S5_T2_lS5_lPT1_S5_S5_
                                        ; -- End function
	.section	.AMDGPU.csdata,"",@progbits
; Kernel info:
; codeLenInByte = 1556
; NumSgprs: 35
; NumVgprs: 28
; NumAgprs: 0
; TotalNumVgprs: 28
; ScratchSize: 0
; MemoryBound: 1
; FloatMode: 240
; IeeeMode: 1
; LDSByteSize: 0 bytes/workgroup (compile time only)
; SGPRBlocks: 4
; VGPRBlocks: 3
; NumSGPRsForWavesPerEU: 35
; NumVGPRsForWavesPerEU: 28
; AccumOffset: 28
; Occupancy: 8
; WaveLimiterHint : 0
; COMPUTE_PGM_RSRC2:SCRATCH_EN: 0
; COMPUTE_PGM_RSRC2:USER_SGPR: 6
; COMPUTE_PGM_RSRC2:TRAP_HANDLER: 0
; COMPUTE_PGM_RSRC2:TGID_X_EN: 1
; COMPUTE_PGM_RSRC2:TGID_Y_EN: 0
; COMPUTE_PGM_RSRC2:TGID_Z_EN: 1
; COMPUTE_PGM_RSRC2:TIDIG_COMP_CNT: 1
; COMPUTE_PGM_RSRC3_GFX90A:ACCUM_OFFSET: 6
; COMPUTE_PGM_RSRC3_GFX90A:TG_SPLIT: 0
	.section	.text._ZN9rocsolver6v33100L18getf2_panel_kernelI19rocblas_complex_numIdEiiPKPS3_EEvT0_S7_T2_lS7_lPS7_llPT1_S7_S7_S9_l,"axG",@progbits,_ZN9rocsolver6v33100L18getf2_panel_kernelI19rocblas_complex_numIdEiiPKPS3_EEvT0_S7_T2_lS7_lPS7_llPT1_S7_S7_S9_l,comdat
	.globl	_ZN9rocsolver6v33100L18getf2_panel_kernelI19rocblas_complex_numIdEiiPKPS3_EEvT0_S7_T2_lS7_lPS7_llPT1_S7_S7_S9_l ; -- Begin function _ZN9rocsolver6v33100L18getf2_panel_kernelI19rocblas_complex_numIdEiiPKPS3_EEvT0_S7_T2_lS7_lPS7_llPT1_S7_S7_S9_l
	.p2align	8
	.type	_ZN9rocsolver6v33100L18getf2_panel_kernelI19rocblas_complex_numIdEiiPKPS3_EEvT0_S7_T2_lS7_lPS7_llPT1_S7_S7_S9_l,@function
_ZN9rocsolver6v33100L18getf2_panel_kernelI19rocblas_complex_numIdEiiPKPS3_EEvT0_S7_T2_lS7_lPS7_llPT1_S7_S7_S9_l: ; @_ZN9rocsolver6v33100L18getf2_panel_kernelI19rocblas_complex_numIdEiiPKPS3_EEvT0_S7_T2_lS7_lPS7_llPT1_S7_S7_S9_l
; %bb.0:
	s_load_dwordx4 s[0:3], s[4:5], 0x8
	s_load_dwordx4 s[8:11], s[4:5], 0x50
	s_load_dword s26, s[4:5], 0x6c
	s_mov_b32 s16, s7
	s_ashr_i32 s17, s7, 31
	s_lshl_b64 s[6:7], s[16:17], 3
	s_waitcnt lgkmcnt(0)
	s_add_u32 s0, s0, s6
	s_addc_u32 s1, s1, s7
	s_load_dwordx2 s[0:1], s[0:1], 0x0
	s_cmp_eq_u64 s[8:9], 0
	s_cselect_b64 s[18:19], -1, 0
	s_mov_b64 s[20:21], 0
	s_and_b64 vcc, exec, s[18:19]
	s_cbranch_vccnz .LBB2_2
; %bb.1:
	s_mul_i32 s6, s16, s11
	s_mul_hi_u32 s7, s16, s10
	s_add_i32 s6, s7, s6
	s_mul_i32 s7, s17, s10
	s_add_i32 s7, s6, s7
	s_mul_i32 s6, s16, s10
	s_lshl_b64 s[6:7], s[6:7], 2
	s_add_u32 s20, s8, s6
	s_addc_u32 s21, s9, s7
.LBB2_2:
	s_load_dwordx2 s[22:23], s[4:5], 0x0
	s_and_b32 s27, s26, 0xffff
	s_lshl_b64 s[2:3], s[2:3], 4
	s_waitcnt lgkmcnt(0)
	s_add_u32 s24, s0, s2
	s_addc_u32 s25, s1, s3
	s_lshl_b32 s0, s27, 4
	s_add_i32 s30, s0, 16
	s_lshl_b32 s0, s23, 4
	v_bfe_u32 v9, v0, 10, 10
	s_add_i32 s33, s30, s0
	s_lshl_b32 s0, s27, 3
	v_and_b32_e32 v8, 0x3ff, v0
	s_add_i32 s31, s33, s0
	v_cmp_eq_u32_e64 s[0:1], 0, v9
                                        ; implicit-def: $vgpr16_vgpr17
	s_and_saveexec_b64 s[2:3], s[0:1]
	s_cbranch_execz .LBB2_6
; %bb.3:
	v_pk_mov_b32 v[0:1], 0, 0
	v_cmp_gt_i32_e32 vcc, s22, v8
	v_pk_mov_b32 v[2:3], v[0:1], v[0:1] op_sel:[0,1]
	s_and_saveexec_b64 s[6:7], vcc
	s_cbranch_execz .LBB2_5
; %bb.4:
	v_lshlrev_b32_e32 v0, 4, v8
	global_load_dwordx4 v[0:3], v0, s[24:25]
.LBB2_5:
	s_or_b64 exec, exec, s[6:7]
	v_lshl_add_u32 v4, v8, 4, 16
	s_waitcnt vmcnt(0)
	ds_write2_b64 v4, v[0:1], v[2:3] offset1:1
	v_xor_b32_e32 v4, 0x80000000, v1
	v_cmp_gt_f64_e32 vcc, 0, v[0:1]
	v_cndmask_b32_e32 v1, v1, v4, vcc
	v_cndmask_b32_e32 v0, v0, v0, vcc
	v_xor_b32_e32 v4, 0x80000000, v3
	v_cmp_gt_f64_e32 vcc, 0, v[2:3]
	v_cndmask_b32_e32 v3, v3, v4, vcc
	v_cndmask_b32_e32 v2, v2, v2, vcc
	v_add_f64 v[16:17], v[0:1], v[2:3]
	v_lshl_add_u32 v0, v8, 3, s33
	ds_write_b64 v0, v[16:17]
	v_lshl_add_u32 v0, v8, 2, s31
	ds_write_b32 v0, v8
.LBB2_6:
	s_or_b64 exec, exec, s[2:3]
	s_load_dwordx8 s[8:15], s[4:5], 0x28
	s_load_dword s40, s[4:5], 0x4c
	s_cmp_lt_i32 s23, 1
	s_cbranch_scc1 .LBB2_54
; %bb.7:
	s_waitcnt lgkmcnt(0)
	s_mul_i32 s2, s16, s13
	s_mul_hi_u32 s3, s16, s12
	s_add_i32 s2, s3, s2
	s_mul_i32 s3, s17, s12
	s_add_i32 s3, s2, s3
	s_mul_i32 s2, s16, s12
	s_lshr_b32 s42, s26, 16
	s_lshl_b64 s[2:3], s[2:3], 2
	s_load_dword s41, s[4:5], 0x18
	s_add_u32 s4, s8, s2
	s_addc_u32 s5, s9, s3
	s_lshl_b64 s[2:3], s[10:11], 2
	s_add_u32 s43, s4, s2
	s_addc_u32 s44, s5, s3
	s_lshr_b32 s45, s27, 1
	s_cmp_gt_u32 s27, 1
	v_lshlrev_b32_e32 v0, 2, v8
	v_or_b32_e32 v1, v8, v9
	v_cmp_gt_u32_e32 vcc, s23, v8
	v_add_u32_e32 v31, 2, v9
	s_cselect_b64 s[8:9], -1, 0
	v_add_u32_e32 v27, s31, v0
	v_cmp_eq_u32_e64 s[2:3], 0, v1
	v_lshlrev_b32_e32 v1, 4, v8
	s_and_b64 s[28:29], s[0:1], vcc
	v_add_co_u32_e32 v12, vcc, s20, v0
	s_waitcnt lgkmcnt(0)
	v_mad_u64_u32 v[14:15], s[10:11], s41, v31, v[8:9]
	v_lshlrev_b32_e32 v0, 4, v9
	s_mov_b32 s27, 0
	v_add_u32_e32 v28, 16, v1
	v_add_u32_e32 v30, s30, v1
	v_mov_b32_e32 v1, s21
	v_add3_u32 v15, s30, v0, 32
	v_cndmask_b32_e64 v0, 0, 1, s[8:9]
	v_lshl_add_u32 v26, v8, 3, s33
	s_add_i32 s46, s40, 1
	v_cmp_gt_i32_e64 s[4:5], s22, v8
	v_mul_lo_u32 v29, v8, s41
	v_cmp_le_i32_e64 s[6:7], s22, v8
	s_add_i32 s47, s23, -1
	v_mov_b32_e32 v10, 0
	v_addc_co_u32_e32 v13, vcc, 0, v1, vcc
	s_add_i32 s48, s30, 16
	s_mul_i32 s49, s41, s42
	s_lshl_b32 s50, s42, 4
	v_cmp_ne_u32_e64 s[8:9], 1, v0
	v_mov_b32_e32 v32, s31
	s_mov_b64 s[30:31], src_shared_base
	s_mov_b32 s22, 0
	s_mov_b32 s26, s27
	s_branch .LBB2_9
.LBB2_8:                                ;   in Loop: Header=BB2_9 Depth=1
	s_or_b64 exec, exec, s[10:11]
	s_add_i32 s26, s26, 1
	v_add_u32_e32 v14, s41, v14
	s_cmp_eq_u32 s26, s23
	v_add_u32_e32 v15, 16, v15
	s_cbranch_scc1 .LBB2_55
.LBB2_9:                                ; =>This Loop Header: Depth=1
                                        ;     Child Loop BB2_16 Depth 2
                                        ;     Child Loop BB2_48 Depth 2
	s_and_b64 vcc, exec, s[8:9]
	s_mov_b32 s30, s45
	v_mov_b32_e32 v2, v8
	s_barrier
	s_cbranch_vccnz .LBB2_18
; %bb.10:                               ;   in Loop: Header=BB2_9 Depth=1
	v_cmp_gt_u32_e32 vcc, s30, v8
	s_and_b64 s[10:11], s[0:1], vcc
	s_and_saveexec_b64 s[12:13], s[10:11]
	s_cbranch_execz .LBB2_16
.LBB2_11:                               ;   in Loop: Header=BB2_9 Depth=1
	v_lshl_add_u32 v0, s30, 3, v26
	ds_read_b64 v[0:1], v0
	v_lshl_add_u32 v3, s30, 2, v27
	ds_read_b32 v3, v3
	s_waitcnt lgkmcnt(0)
	v_cmp_lt_f64_e64 s[34:35], v[16:17], v[0:1]
	v_cmp_nlt_f64_e32 vcc, v[16:17], v[0:1]
	s_and_saveexec_b64 s[36:37], vcc
	s_cbranch_execz .LBB2_13
; %bb.12:                               ;   in Loop: Header=BB2_9 Depth=1
	v_cmp_eq_f64_e32 vcc, v[16:17], v[0:1]
	s_waitcnt lgkmcnt(0)
	v_cmp_gt_i32_e64 s[10:11], v2, v3
	s_and_b64 s[10:11], vcc, s[10:11]
	s_andn2_b64 s[34:35], s[34:35], exec
	s_and_b64 s[10:11], s[10:11], exec
	s_or_b64 s[34:35], s[34:35], s[10:11]
.LBB2_13:                               ;   in Loop: Header=BB2_9 Depth=1
	s_or_b64 exec, exec, s[36:37]
	s_and_saveexec_b64 s[10:11], s[34:35]
	s_cbranch_execz .LBB2_15
; %bb.14:                               ;   in Loop: Header=BB2_9 Depth=1
	v_pk_mov_b32 v[16:17], v[0:1], v[0:1] op_sel:[0,1]
	s_waitcnt lgkmcnt(0)
	v_mov_b32_e32 v2, v3
	ds_write_b64 v26, v[0:1]
	ds_write_b32 v27, v3
.LBB2_15:                               ;   in Loop: Header=BB2_9 Depth=1
	s_or_b64 exec, exec, s[10:11]
.LBB2_16:                               ;   Parent Loop BB2_9 Depth=1
                                        ; =>  This Inner Loop Header: Depth=2
	s_or_b64 exec, exec, s[12:13]
	s_lshr_b32 s10, s30, 1
	s_cmp_lt_u32 s30, 2
	s_waitcnt lgkmcnt(0)
	s_barrier
	s_cbranch_scc1 .LBB2_18
; %bb.17:                               ;   in Loop: Header=BB2_16 Depth=2
	s_mov_b32 s30, s10
	v_cmp_gt_u32_e32 vcc, s30, v8
	s_and_b64 s[10:11], s[0:1], vcc
	s_and_saveexec_b64 s[12:13], s[10:11]
	s_cbranch_execnz .LBB2_11
	s_branch .LBB2_16
.LBB2_18:                               ;   in Loop: Header=BB2_9 Depth=1
	ds_read_b32 v0, v32
	s_waitcnt lgkmcnt(0)
	v_lshlrev_b32_e32 v1, 4, v0
	v_add_u32_e32 v1, 16, v1
	ds_read2_b64 v[4:7], v1 offset1:1
	v_readfirstlane_b32 s34, v0
	s_waitcnt lgkmcnt(0)
	v_cmp_eq_f64_e32 vcc, 0, v[4:5]
	v_cmp_eq_f64_e64 s[10:11], 0, v[6:7]
	s_and_b64 s[10:11], vcc, s[10:11]
	s_andn2_b64 vcc, exec, s[10:11]
	s_cbranch_vccz .LBB2_21
; %bb.19:                               ;   in Loop: Header=BB2_9 Depth=1
	v_xor_b32_e32 v0, 0x80000000, v5
	v_cmp_gt_f64_e32 vcc, 0, v[4:5]
	v_cndmask_b32_e32 v1, v5, v0, vcc
	v_xor_b32_e32 v2, 0x80000000, v7
	v_cmp_gt_f64_e32 vcc, 0, v[6:7]
	v_mov_b32_e32 v0, v4
	v_cndmask_b32_e32 v3, v7, v2, vcc
	v_mov_b32_e32 v2, v6
	v_cmp_ngt_f64_e32 vcc, v[0:1], v[2:3]
	s_cbranch_vccz .LBB2_22
; %bb.20:                               ;   in Loop: Header=BB2_9 Depth=1
	v_div_scale_f64 v[0:1], s[10:11], v[6:7], v[6:7], v[4:5]
	v_rcp_f64_e32 v[2:3], v[0:1]
	v_div_scale_f64 v[18:19], vcc, v[4:5], v[6:7], v[4:5]
	v_fma_f64 v[20:21], -v[0:1], v[2:3], 1.0
	v_fmac_f64_e32 v[2:3], v[2:3], v[20:21]
	v_fma_f64 v[20:21], -v[0:1], v[2:3], 1.0
	v_fmac_f64_e32 v[2:3], v[2:3], v[20:21]
	v_mul_f64 v[20:21], v[18:19], v[2:3]
	v_fma_f64 v[0:1], -v[0:1], v[20:21], v[18:19]
	v_div_fmas_f64 v[0:1], v[0:1], v[2:3], v[20:21]
	v_div_fixup_f64 v[0:1], v[0:1], v[6:7], v[4:5]
	v_fma_f64 v[2:3], v[4:5], v[0:1], v[6:7]
	v_div_scale_f64 v[18:19], s[10:11], v[2:3], v[2:3], 1.0
	v_rcp_f64_e32 v[20:21], v[18:19]
	v_fma_f64 v[22:23], -v[18:19], v[20:21], 1.0
	v_fmac_f64_e32 v[20:21], v[20:21], v[22:23]
	v_fma_f64 v[22:23], -v[18:19], v[20:21], 1.0
	v_fmac_f64_e32 v[20:21], v[20:21], v[22:23]
	v_div_scale_f64 v[22:23], vcc, 1.0, v[2:3], 1.0
	v_mul_f64 v[24:25], v[22:23], v[20:21]
	v_fma_f64 v[18:19], -v[18:19], v[24:25], v[22:23]
	s_nop 1
	v_div_fmas_f64 v[18:19], v[18:19], v[20:21], v[24:25]
	v_div_fixup_f64 v[2:3], v[18:19], v[2:3], 1.0
	v_mul_f64 v[0:1], v[0:1], v[2:3]
	v_xor_b32_e32 v3, 0x80000000, v3
	s_cbranch_execz .LBB2_23
	s_branch .LBB2_24
.LBB2_21:                               ;   in Loop: Header=BB2_9 Depth=1
                                        ; implicit-def: $sgpr34
                                        ; implicit-def: $vgpr2_vgpr3
	s_branch .LBB2_25
.LBB2_22:                               ;   in Loop: Header=BB2_9 Depth=1
                                        ; implicit-def: $vgpr2_vgpr3
.LBB2_23:                               ;   in Loop: Header=BB2_9 Depth=1
	v_div_scale_f64 v[0:1], s[10:11], v[4:5], v[4:5], v[6:7]
	v_rcp_f64_e32 v[2:3], v[0:1]
	v_div_scale_f64 v[18:19], vcc, v[6:7], v[4:5], v[6:7]
	v_fma_f64 v[20:21], -v[0:1], v[2:3], 1.0
	v_fmac_f64_e32 v[2:3], v[2:3], v[20:21]
	v_fma_f64 v[20:21], -v[0:1], v[2:3], 1.0
	v_fmac_f64_e32 v[2:3], v[2:3], v[20:21]
	v_mul_f64 v[20:21], v[18:19], v[2:3]
	v_fma_f64 v[0:1], -v[0:1], v[20:21], v[18:19]
	v_div_fmas_f64 v[0:1], v[0:1], v[2:3], v[20:21]
	v_div_fixup_f64 v[2:3], v[0:1], v[4:5], v[6:7]
	v_fma_f64 v[0:1], v[6:7], v[2:3], v[4:5]
	v_div_scale_f64 v[18:19], s[10:11], v[0:1], v[0:1], 1.0
	v_rcp_f64_e32 v[20:21], v[18:19]
	v_fma_f64 v[22:23], -v[18:19], v[20:21], 1.0
	v_fmac_f64_e32 v[20:21], v[20:21], v[22:23]
	v_fma_f64 v[22:23], -v[18:19], v[20:21], 1.0
	v_fmac_f64_e32 v[20:21], v[20:21], v[22:23]
	v_div_scale_f64 v[22:23], vcc, 1.0, v[0:1], 1.0
	v_mul_f64 v[24:25], v[22:23], v[20:21]
	v_fma_f64 v[18:19], -v[18:19], v[24:25], v[22:23]
	s_nop 1
	v_div_fmas_f64 v[18:19], v[18:19], v[20:21], v[24:25]
	v_div_fixup_f64 v[0:1], v[18:19], v[0:1], 1.0
	v_mul_f64 v[2:3], v[2:3], -v[0:1]
.LBB2_24:                               ;   in Loop: Header=BB2_9 Depth=1
	s_cbranch_execnz .LBB2_26
.LBB2_25:                               ;   in Loop: Header=BB2_9 Depth=1
	s_add_i32 s10, s26, 1
	s_cmp_eq_u32 s22, 0
	s_cselect_b32 s22, s10, s22
	v_pk_mov_b32 v[0:1], v[4:5], v[4:5] op_sel:[0,1]
	v_pk_mov_b32 v[2:3], v[6:7], v[6:7] op_sel:[0,1]
	s_mov_b32 s34, s26
.LBB2_26:                               ;   in Loop: Header=BB2_9 Depth=1
	s_and_saveexec_b64 s[10:11], s[2:3]
	s_cbranch_execz .LBB2_28
; %bb.27:                               ;   in Loop: Header=BB2_9 Depth=1
	s_lshl_b64 s[12:13], s[26:27], 2
	s_add_u32 s12, s43, s12
	s_addc_u32 s13, s44, s13
	s_add_i32 s30, s46, s34
	v_mov_b32_e32 v4, s30
	global_store_dword v10, v4, s[12:13]
.LBB2_28:                               ;   in Loop: Header=BB2_9 Depth=1
	s_or_b64 exec, exec, s[10:11]
	v_cmp_eq_u32_e32 vcc, s34, v8
	v_cmp_ne_u32_e64 s[10:11], s34, v8
	s_and_saveexec_b64 s[12:13], s[10:11]
	s_cbranch_execz .LBB2_32
; %bb.29:                               ;   in Loop: Header=BB2_9 Depth=1
	ds_read2_b64 v[18:21], v28 offset1:1
	v_cmp_le_u32_e64 s[10:11], s26, v8
	s_and_b64 s[10:11], s[4:5], s[10:11]
	s_and_b64 s[10:11], s[0:1], s[10:11]
	s_waitcnt lgkmcnt(0)
	v_mul_f64 v[4:5], v[2:3], v[20:21]
	v_mul_f64 v[6:7], v[0:1], v[20:21]
	v_fma_f64 v[4:5], v[0:1], v[18:19], -v[4:5]
	v_fmac_f64_e32 v[6:7], v[2:3], v[18:19]
	s_and_saveexec_b64 s[36:37], s[10:11]
	s_cbranch_execz .LBB2_31
; %bb.30:                               ;   in Loop: Header=BB2_9 Depth=1
	s_mul_i32 s10, s26, s41
	v_add_u32_e32 v0, s10, v8
	v_ashrrev_i32_e32 v1, 31, v0
	v_lshlrev_b64 v[0:1], 4, v[0:1]
	v_mov_b32_e32 v2, s25
	v_add_co_u32_e64 v0, s[10:11], s24, v0
	v_addc_co_u32_e64 v1, s[10:11], v2, v1, s[10:11]
	global_store_dwordx4 v[0:1], v[4:7], off
.LBB2_31:                               ;   in Loop: Header=BB2_9 Depth=1
	s_or_b64 exec, exec, s[36:37]
	v_pk_mov_b32 v[0:1], v[4:5], v[4:5] op_sel:[0,1]
	v_pk_mov_b32 v[2:3], v[6:7], v[6:7] op_sel:[0,1]
.LBB2_32:                               ;   in Loop: Header=BB2_9 Depth=1
	s_or_b64 exec, exec, s[12:13]
	v_add_u32_e32 v18, s34, v29
	v_ashrrev_i32_e32 v19, 31, v18
	s_and_saveexec_b64 s[12:13], s[28:29]
	s_cbranch_execz .LBB2_35
; %bb.33:                               ;   in Loop: Header=BB2_9 Depth=1
	v_lshlrev_b64 v[4:5], 4, v[18:19]
	v_mov_b32_e32 v6, s25
	v_add_co_u32_e64 v4, s[10:11], s24, v4
	v_addc_co_u32_e64 v5, s[10:11], v6, v5, s[10:11]
	global_load_dwordx4 v[4:7], v[4:5], off
	v_cmp_eq_u32_e64 s[10:11], s26, v8
	s_waitcnt vmcnt(0)
	ds_write2_b64 v30, v[4:5], v[6:7] offset1:1
	s_and_b64 exec, exec, s[10:11]
	s_cbranch_execz .LBB2_35
; %bb.34:                               ;   in Loop: Header=BB2_9 Depth=1
	ds_write_b128 v10, v[0:3]
.LBB2_35:                               ;   in Loop: Header=BB2_9 Depth=1
	s_or_b64 exec, exec, s[12:13]
	s_cmp_lg_u32 s34, s26
	s_cselect_b64 s[10:11], -1, 0
	s_and_b64 s[10:11], s[28:29], s[10:11]
	s_waitcnt lgkmcnt(0)
	s_barrier
	s_and_saveexec_b64 s[36:37], s[10:11]
	s_cbranch_execz .LBB2_43
; %bb.36:                               ;   in Loop: Header=BB2_9 Depth=1
	v_add_u32_e32 v4, s26, v29
	v_ashrrev_i32_e32 v5, 31, v4
	v_lshlrev_b64 v[4:5], 4, v[4:5]
	v_mov_b32_e32 v6, s25
	v_add_co_u32_e64 v20, s[10:11], s24, v4
	v_addc_co_u32_e64 v21, s[10:11], v6, v5, s[10:11]
	v_mov_b32_e32 v4, s31
	v_cmp_ne_u32_e64 s[10:11], s26, v8
	v_cndmask_b32_e64 v5, v4, v21, s[10:11]
	v_cndmask_b32_e64 v4, 0, v20, s[10:11]
	flat_load_dwordx4 v[4:7], v[4:5]
	v_pk_mov_b32 v[22:23], 0, 0
	v_cmp_lt_u32_e64 s[12:13], s26, v8
	v_pk_mov_b32 v[24:25], v[22:23], v[22:23] op_sel:[0,1]
	s_and_saveexec_b64 s[38:39], s[12:13]
	s_cbranch_execz .LBB2_38
; %bb.37:                               ;   in Loop: Header=BB2_9 Depth=1
	ds_read2_b64 v[34:37], v30 offset1:1
	ds_read_b128 v[38:41], v10
	s_waitcnt lgkmcnt(0)
	v_mul_f64 v[24:25], v[36:37], v[40:41]
	v_mul_f64 v[22:23], v[34:35], v[40:41]
	v_fma_f64 v[24:25], v[34:35], v[38:39], -v[24:25]
	v_fmac_f64_e32 v[22:23], v[36:37], v[38:39]
.LBB2_38:                               ;   in Loop: Header=BB2_9 Depth=1
	s_or_b64 exec, exec, s[38:39]
	v_lshlrev_b64 v[18:19], 4, v[18:19]
	s_waitcnt vmcnt(0) lgkmcnt(0)
	v_add_f64 v[4:5], v[4:5], -v[24:25]
	v_add_f64 v[6:7], v[6:7], -v[22:23]
	v_mov_b32_e32 v11, s25
	ds_read2_b64 v[22:25], v30 offset1:1
	v_add_co_u32_e64 v18, s[12:13], s24, v18
	v_addc_co_u32_e64 v19, s[12:13], v11, v19, s[12:13]
	s_add_i32 s12, s26, 1
	v_cmp_eq_u32_e64 s[12:13], s12, v8
	global_store_dwordx4 v[18:19], v[4:7], off
	s_waitcnt lgkmcnt(0)
	global_store_dwordx4 v[20:21], v[22:25], off
	s_and_saveexec_b64 s[38:39], s[12:13]
	s_cbranch_execz .LBB2_40
; %bb.39:                               ;   in Loop: Header=BB2_9 Depth=1
	s_lshl_b32 s12, s34, 4
	s_add_i32 s12, s12, 16
	v_mov_b32_e32 v11, s12
	ds_write2_b64 v11, v[4:5], v[6:7] offset1:1
	v_xor_b32_e32 v11, 0x80000000, v5
	v_cmp_gt_f64_e64 s[12:13], 0, v[4:5]
	v_cndmask_b32_e64 v5, v5, v11, s[12:13]
	v_cndmask_b32_e64 v4, v4, v4, s[12:13]
	v_xor_b32_e32 v11, 0x80000000, v7
	v_cmp_gt_f64_e64 s[12:13], 0, v[6:7]
	v_cndmask_b32_e64 v7, v7, v11, s[12:13]
	v_cndmask_b32_e64 v6, v6, v6, s[12:13]
	s_lshl_b32 s12, s34, 3
	s_add_i32 s12, s33, s12
	v_add_f64 v[16:17], v[6:7], v[4:5]
	v_mov_b32_e32 v4, s12
	ds_write_b64 v4, v[16:17]
.LBB2_40:                               ;   in Loop: Header=BB2_9 Depth=1
	s_or_b64 exec, exec, s[38:39]
	s_or_b64 s[10:11], s[18:19], s[10:11]
	s_xor_b64 s[12:13], s[10:11], -1
	s_and_saveexec_b64 s[10:11], s[12:13]
	s_cbranch_execz .LBB2_42
; %bb.41:                               ;   in Loop: Header=BB2_9 Depth=1
	s_ashr_i32 s35, s34, 31
	s_lshl_b64 s[12:13], s[34:35], 2
	s_add_u32 s12, s20, s12
	s_addc_u32 s13, s21, s13
	v_pk_mov_b32 v[4:5], s[12:13], s[12:13] op_sel:[0,1]
	flat_load_dword v6, v[4:5]
	flat_load_dword v7, v[12:13]
	s_waitcnt vmcnt(0) lgkmcnt(0)
	flat_store_dword v[12:13], v6
	flat_store_dword v[4:5], v7
.LBB2_42:                               ;   in Loop: Header=BB2_9 Depth=1
	s_or_b64 exec, exec, s[10:11]
.LBB2_43:                               ;   in Loop: Header=BB2_9 Depth=1
	s_or_b64 exec, exec, s[36:37]
	v_cmp_ge_u32_e64 s[10:11], s26, v8
	s_or_b64 s[12:13], s[6:7], s[10:11]
	s_or_b64 s[12:13], s[12:13], vcc
	s_xor_b64 s[34:35], s[12:13], -1
	s_and_saveexec_b64 s[12:13], s[34:35]
	s_cbranch_execnz .LBB2_46
; %bb.44:                               ;   in Loop: Header=BB2_9 Depth=1
	s_or_b64 exec, exec, s[12:13]
	s_and_b64 s[12:13], s[0:1], s[10:11]
	s_and_saveexec_b64 s[10:11], s[12:13]
	s_cbranch_execnz .LBB2_52
.LBB2_45:                               ;   in Loop: Header=BB2_9 Depth=1
	s_or_b64 exec, exec, s[10:11]
	s_and_saveexec_b64 s[10:11], s[0:1]
	s_cbranch_execz .LBB2_8
	s_branch .LBB2_53
.LBB2_46:                               ;   in Loop: Header=BB2_9 Depth=1
	v_add_u32_e32 v6, s26, v31
	v_cmp_gt_i32_e32 vcc, s23, v6
	s_and_saveexec_b64 s[34:35], vcc
	s_cbranch_execz .LBB2_49
; %bb.47:                               ;   in Loop: Header=BB2_9 Depth=1
	s_mov_b64 s[36:37], 0
	v_mov_b32_e32 v7, v15
	v_mov_b32_e32 v4, v14
.LBB2_48:                               ;   Parent Loop BB2_9 Depth=1
                                        ; =>  This Inner Loop Header: Depth=2
	v_ashrrev_i32_e32 v5, 31, v4
	v_lshlrev_b64 v[18:19], 4, v[4:5]
	v_mov_b32_e32 v11, s25
	v_add_co_u32_e32 v34, vcc, s24, v18
	v_addc_co_u32_e32 v35, vcc, v11, v19, vcc
	global_load_dwordx4 v[18:21], v[34:35], off
	ds_read2_b64 v[22:25], v7 offset1:1
	v_add_u32_e32 v6, s42, v6
	v_cmp_le_i32_e32 vcc, s23, v6
	v_add_u32_e32 v7, s50, v7
	v_add_u32_e32 v4, s49, v4
	s_waitcnt lgkmcnt(0)
	v_mul_f64 v[36:37], v[2:3], v[24:25]
	v_mul_f64 v[24:25], v[0:1], v[24:25]
	v_fma_f64 v[36:37], v[0:1], v[22:23], -v[36:37]
	v_fmac_f64_e32 v[24:25], v[2:3], v[22:23]
	s_or_b64 s[36:37], vcc, s[36:37]
	s_waitcnt vmcnt(0)
	v_add_f64 v[18:19], v[18:19], -v[36:37]
	v_add_f64 v[20:21], v[20:21], -v[24:25]
	global_store_dwordx4 v[34:35], v[18:21], off
	s_andn2_b64 exec, exec, s[36:37]
	s_cbranch_execnz .LBB2_48
.LBB2_49:                               ;   in Loop: Header=BB2_9 Depth=1
	s_or_b64 exec, exec, s[34:35]
	s_cmp_lt_i32 s26, s47
	s_cselect_b64 s[34:35], -1, 0
	s_and_b64 s[36:37], s[0:1], s[34:35]
	s_and_saveexec_b64 s[34:35], s[36:37]
	s_cbranch_execz .LBB2_51
; %bb.50:                               ;   in Loop: Header=BB2_9 Depth=1
	s_add_i32 s30, s26, 1
	s_mul_i32 s30, s30, s41
	v_add_u32_e32 v4, s30, v8
	v_ashrrev_i32_e32 v5, 31, v4
	v_lshlrev_b64 v[4:5], 4, v[4:5]
	v_mov_b32_e32 v6, s25
	v_add_co_u32_e32 v20, vcc, s24, v4
	v_addc_co_u32_e32 v21, vcc, v6, v5, vcc
	global_load_dwordx4 v[4:7], v[20:21], off
	s_lshl_b32 s30, s26, 4
	s_add_i32 s30, s48, s30
	v_mov_b32_e32 v11, s30
	ds_read2_b64 v[16:19], v11 offset1:1
	s_waitcnt lgkmcnt(0)
	v_mul_f64 v[22:23], v[2:3], v[18:19]
	v_mul_f64 v[18:19], v[0:1], v[18:19]
	v_fma_f64 v[0:1], v[0:1], v[16:17], -v[22:23]
	v_fmac_f64_e32 v[18:19], v[2:3], v[16:17]
	s_waitcnt vmcnt(0)
	v_add_f64 v[0:1], v[4:5], -v[0:1]
	v_add_f64 v[2:3], v[6:7], -v[18:19]
	v_xor_b32_e32 v4, 0x80000000, v1
	v_cmp_gt_f64_e32 vcc, 0, v[0:1]
	global_store_dwordx4 v[20:21], v[0:3], off
	ds_write2_b64 v28, v[0:1], v[2:3] offset1:1
	v_xor_b32_e32 v5, 0x80000000, v3
	v_cndmask_b32_e32 v1, v1, v4, vcc
	v_cndmask_b32_e32 v0, v0, v0, vcc
	v_cmp_gt_f64_e32 vcc, 0, v[2:3]
	v_cndmask_b32_e32 v3, v3, v5, vcc
	v_cndmask_b32_e32 v2, v2, v2, vcc
	v_add_f64 v[16:17], v[0:1], v[2:3]
	ds_write_b64 v26, v[16:17]
.LBB2_51:                               ;   in Loop: Header=BB2_9 Depth=1
	s_or_b64 exec, exec, s[34:35]
	s_or_b64 exec, exec, s[12:13]
	s_and_b64 s[12:13], s[0:1], s[10:11]
	s_and_saveexec_b64 s[10:11], s[12:13]
	s_cbranch_execz .LBB2_45
.LBB2_52:                               ;   in Loop: Header=BB2_9 Depth=1
	s_mov_b32 s12, s27
	s_mov_b32 s13, s27
	;; [unrolled: 1-line block ×4, first 2 shown]
	v_pk_mov_b32 v[0:1], s[12:13], s[12:13] op_sel:[0,1]
	v_pk_mov_b32 v[2:3], s[34:35], s[34:35] op_sel:[0,1]
	v_mov_b32_e32 v11, v10
	v_pk_mov_b32 v[16:17], 0, 0
	ds_write2_b64 v28, v[0:1], v[2:3] offset1:1
	ds_write_b64 v26, v[10:11]
	s_or_b64 exec, exec, s[10:11]
	s_and_saveexec_b64 s[10:11], s[0:1]
	s_cbranch_execz .LBB2_8
.LBB2_53:                               ;   in Loop: Header=BB2_9 Depth=1
	ds_write_b32 v27, v8
	s_branch .LBB2_8
.LBB2_54:
	s_mov_b32 s22, 0
.LBB2_55:
	v_cmp_eq_u32_e32 vcc, 0, v8
	s_and_saveexec_b64 s[0:1], vcc
	s_cbranch_execz .LBB2_58
; %bb.56:
	s_lshl_b64 s[0:1], s[16:17], 2
	s_waitcnt lgkmcnt(0)
	s_add_u32 s0, s14, s0
	s_addc_u32 s1, s15, s1
	v_mov_b32_e32 v0, 0
	global_load_dword v1, v0, s[0:1]
	s_cmp_gt_i32 s22, 0
	s_cselect_b64 s[2:3], -1, 0
	s_waitcnt vmcnt(0)
	v_or_b32_e32 v1, v1, v9
	v_cmp_eq_u32_e32 vcc, 0, v1
	s_and_b64 s[2:3], vcc, s[2:3]
	s_and_b64 exec, exec, s[2:3]
	s_cbranch_execz .LBB2_58
; %bb.57:
	s_add_i32 s2, s22, s40
	v_mov_b32_e32 v1, s2
	global_store_dword v0, v1, s[0:1]
.LBB2_58:
	s_endpgm
	.section	.rodata,"a",@progbits
	.p2align	6, 0x0
	.amdhsa_kernel _ZN9rocsolver6v33100L18getf2_panel_kernelI19rocblas_complex_numIdEiiPKPS3_EEvT0_S7_T2_lS7_lPS7_llPT1_S7_S7_S9_l
		.amdhsa_group_segment_fixed_size 16
		.amdhsa_private_segment_fixed_size 0
		.amdhsa_kernarg_size 352
		.amdhsa_user_sgpr_count 6
		.amdhsa_user_sgpr_private_segment_buffer 1
		.amdhsa_user_sgpr_dispatch_ptr 0
		.amdhsa_user_sgpr_queue_ptr 0
		.amdhsa_user_sgpr_kernarg_segment_ptr 1
		.amdhsa_user_sgpr_dispatch_id 0
		.amdhsa_user_sgpr_flat_scratch_init 0
		.amdhsa_user_sgpr_kernarg_preload_length 0
		.amdhsa_user_sgpr_kernarg_preload_offset 0
		.amdhsa_user_sgpr_private_segment_size 0
		.amdhsa_uses_dynamic_stack 0
		.amdhsa_system_sgpr_private_segment_wavefront_offset 0
		.amdhsa_system_sgpr_workgroup_id_x 1
		.amdhsa_system_sgpr_workgroup_id_y 0
		.amdhsa_system_sgpr_workgroup_id_z 1
		.amdhsa_system_sgpr_workgroup_info 0
		.amdhsa_system_vgpr_workitem_id 1
		.amdhsa_next_free_vgpr 42
		.amdhsa_next_free_sgpr 51
		.amdhsa_accum_offset 44
		.amdhsa_reserve_vcc 1
		.amdhsa_reserve_flat_scratch 0
		.amdhsa_float_round_mode_32 0
		.amdhsa_float_round_mode_16_64 0
		.amdhsa_float_denorm_mode_32 3
		.amdhsa_float_denorm_mode_16_64 3
		.amdhsa_dx10_clamp 1
		.amdhsa_ieee_mode 1
		.amdhsa_fp16_overflow 0
		.amdhsa_tg_split 0
		.amdhsa_exception_fp_ieee_invalid_op 0
		.amdhsa_exception_fp_denorm_src 0
		.amdhsa_exception_fp_ieee_div_zero 0
		.amdhsa_exception_fp_ieee_overflow 0
		.amdhsa_exception_fp_ieee_underflow 0
		.amdhsa_exception_fp_ieee_inexact 0
		.amdhsa_exception_int_div_zero 0
	.end_amdhsa_kernel
	.section	.text._ZN9rocsolver6v33100L18getf2_panel_kernelI19rocblas_complex_numIdEiiPKPS3_EEvT0_S7_T2_lS7_lPS7_llPT1_S7_S7_S9_l,"axG",@progbits,_ZN9rocsolver6v33100L18getf2_panel_kernelI19rocblas_complex_numIdEiiPKPS3_EEvT0_S7_T2_lS7_lPS7_llPT1_S7_S7_S9_l,comdat
.Lfunc_end2:
	.size	_ZN9rocsolver6v33100L18getf2_panel_kernelI19rocblas_complex_numIdEiiPKPS3_EEvT0_S7_T2_lS7_lPS7_llPT1_S7_S7_S9_l, .Lfunc_end2-_ZN9rocsolver6v33100L18getf2_panel_kernelI19rocblas_complex_numIdEiiPKPS3_EEvT0_S7_T2_lS7_lPS7_llPT1_S7_S7_S9_l
                                        ; -- End function
	.section	.AMDGPU.csdata,"",@progbits
; Kernel info:
; codeLenInByte = 2772
; NumSgprs: 55
; NumVgprs: 42
; NumAgprs: 0
; TotalNumVgprs: 42
; ScratchSize: 0
; MemoryBound: 1
; FloatMode: 240
; IeeeMode: 1
; LDSByteSize: 16 bytes/workgroup (compile time only)
; SGPRBlocks: 6
; VGPRBlocks: 5
; NumSGPRsForWavesPerEU: 55
; NumVGPRsForWavesPerEU: 42
; AccumOffset: 44
; Occupancy: 8
; WaveLimiterHint : 1
; COMPUTE_PGM_RSRC2:SCRATCH_EN: 0
; COMPUTE_PGM_RSRC2:USER_SGPR: 6
; COMPUTE_PGM_RSRC2:TRAP_HANDLER: 0
; COMPUTE_PGM_RSRC2:TGID_X_EN: 1
; COMPUTE_PGM_RSRC2:TGID_Y_EN: 0
; COMPUTE_PGM_RSRC2:TGID_Z_EN: 1
; COMPUTE_PGM_RSRC2:TIDIG_COMP_CNT: 1
; COMPUTE_PGM_RSRC3_GFX90A:ACCUM_OFFSET: 10
; COMPUTE_PGM_RSRC3_GFX90A:TG_SPLIT: 0
	.section	.text._ZN9rocsolver6v33100L23getf2_npvt_panel_kernelI19rocblas_complex_numIdEiiPKPS3_EEvT0_S7_T2_lS7_lPT1_S7_S7_,"axG",@progbits,_ZN9rocsolver6v33100L23getf2_npvt_panel_kernelI19rocblas_complex_numIdEiiPKPS3_EEvT0_S7_T2_lS7_lPT1_S7_S7_,comdat
	.globl	_ZN9rocsolver6v33100L23getf2_npvt_panel_kernelI19rocblas_complex_numIdEiiPKPS3_EEvT0_S7_T2_lS7_lPT1_S7_S7_ ; -- Begin function _ZN9rocsolver6v33100L23getf2_npvt_panel_kernelI19rocblas_complex_numIdEiiPKPS3_EEvT0_S7_T2_lS7_lPT1_S7_S7_
	.p2align	8
	.type	_ZN9rocsolver6v33100L23getf2_npvt_panel_kernelI19rocblas_complex_numIdEiiPKPS3_EEvT0_S7_T2_lS7_lPT1_S7_S7_,@function
_ZN9rocsolver6v33100L23getf2_npvt_panel_kernelI19rocblas_complex_numIdEiiPKPS3_EEvT0_S7_T2_lS7_lPT1_S7_S7_: ; @_ZN9rocsolver6v33100L23getf2_npvt_panel_kernelI19rocblas_complex_numIdEiiPKPS3_EEvT0_S7_T2_lS7_lPT1_S7_S7_
; %bb.0:
	s_load_dwordx4 s[0:3], s[4:5], 0x8
	s_load_dwordx2 s[10:11], s[4:5], 0x0
	s_mov_b32 s8, s7
	s_ashr_i32 s9, s7, 31
	s_lshl_b64 s[6:7], s[8:9], 3
	s_waitcnt lgkmcnt(0)
	s_add_u32 s0, s0, s6
	s_addc_u32 s1, s1, s7
	s_load_dwordx2 s[0:1], s[0:1], 0x0
	s_lshl_b64 s[2:3], s[2:3], 4
	s_load_dword s14, s[4:5], 0x44
	v_bfe_u32 v5, v0, 10, 10
	v_and_b32_e32 v4, 0x3ff, v0
	s_waitcnt lgkmcnt(0)
	s_add_u32 s12, s0, s2
	s_addc_u32 s13, s1, s3
	v_cmp_eq_u32_e64 s[0:1], 0, v5
	s_and_saveexec_b64 s[2:3], s[0:1]
	s_cbranch_execz .LBB3_4
; %bb.1:
	v_pk_mov_b32 v[0:1], 0, 0
	v_cmp_gt_i32_e32 vcc, s10, v4
	v_pk_mov_b32 v[2:3], v[0:1], v[0:1] op_sel:[0,1]
	s_and_saveexec_b64 s[6:7], vcc
	s_cbranch_execz .LBB3_3
; %bb.2:
	v_lshlrev_b32_e32 v0, 4, v4
	global_load_dwordx4 v[0:3], v0, s[12:13]
.LBB3_3:
	s_or_b64 exec, exec, s[6:7]
	v_lshl_add_u32 v6, v4, 4, 0
	s_waitcnt vmcnt(0)
	ds_write2_b64 v6, v[0:1], v[2:3] offset1:1
.LBB3_4:
	s_or_b64 exec, exec, s[2:3]
	s_cmp_lt_i32 s11, 1
	s_cbranch_scc1 .LBB3_29
; %bb.5:
	s_load_dword s22, s[4:5], 0x18
	s_and_b32 s2, s14, 0xffff
	s_lshl_b32 s2, s2, 4
	s_add_i32 s15, s2, 0
	v_lshlrev_b32_e32 v0, 4, v4
	v_add_u32_e32 v15, 2, v5
	s_lshr_b32 s23, s14, 16
	v_add_u32_e32 v12, 0, v0
	v_cmp_gt_u32_e32 vcc, s11, v4
	v_add_u32_e32 v14, s15, v0
	s_waitcnt lgkmcnt(0)
	v_mad_u64_u32 v[6:7], s[6:7], s22, v15, v[4:5]
	v_lshlrev_b32_e32 v0, 4, v5
	s_mov_b32 s14, 0
	v_cmp_gt_i32_e64 s[2:3], s10, v4
	s_and_b64 s[16:17], s[0:1], vcc
	v_mul_lo_u32 v13, v4, s22
	s_add_i32 s24, s11, -1
	s_add_i32 s25, s15, 16
	s_mul_i32 s26, s22, s23
	v_add3_u32 v7, s15, v0, 32
	s_lshl_b32 s27, s23, 4
	s_mov_b32 s10, 0
	s_mov_b32 s28, 0
	s_branch .LBB3_7
.LBB3_6:                                ;   in Loop: Header=BB3_7 Depth=1
	s_or_b64 exec, exec, s[6:7]
	s_add_i32 s28, s28, 1
	v_add_u32_e32 v6, s22, v6
	s_cmp_eq_u32 s28, s11
	v_add_u32_e32 v7, 16, v7
	s_cbranch_scc1 .LBB3_30
.LBB3_7:                                ; =>This Loop Header: Depth=1
                                        ;     Child Loop BB3_21 Depth 2
	s_lshl_b32 s15, s28, 4
	s_add_i32 s6, s15, 0
	v_mov_b32_e32 v0, s6
	s_barrier
	ds_read2_b64 v[0:3], v0 offset1:1
	s_waitcnt lgkmcnt(0)
	v_cmp_eq_f64_e32 vcc, 0, v[0:1]
	v_cmp_eq_f64_e64 s[6:7], 0, v[2:3]
	s_and_b64 s[6:7], vcc, s[6:7]
	s_cmp_eq_u32 s10, 0
	s_cselect_b64 s[18:19], -1, 0
	s_and_b64 s[6:7], s[6:7], s[18:19]
	s_andn2_b64 vcc, exec, s[6:7]
	s_cbranch_vccz .LBB3_10
; %bb.8:                                ;   in Loop: Header=BB3_7 Depth=1
	v_xor_b32_e32 v8, 0x80000000, v1
	v_cmp_gt_f64_e32 vcc, 0, v[0:1]
	v_cndmask_b32_e32 v9, v1, v8, vcc
	v_xor_b32_e32 v10, 0x80000000, v3
	v_cmp_gt_f64_e32 vcc, 0, v[2:3]
	v_mov_b32_e32 v8, v0
	v_cndmask_b32_e32 v11, v3, v10, vcc
	v_mov_b32_e32 v10, v2
	v_cmp_ngt_f64_e32 vcc, v[8:9], v[10:11]
	s_cbranch_vccz .LBB3_11
; %bb.9:                                ;   in Loop: Header=BB3_7 Depth=1
	v_div_scale_f64 v[8:9], s[6:7], v[2:3], v[2:3], v[0:1]
	v_rcp_f64_e32 v[10:11], v[8:9]
	v_div_scale_f64 v[16:17], vcc, v[0:1], v[2:3], v[0:1]
	v_fma_f64 v[18:19], -v[8:9], v[10:11], 1.0
	v_fmac_f64_e32 v[10:11], v[10:11], v[18:19]
	v_fma_f64 v[18:19], -v[8:9], v[10:11], 1.0
	v_fmac_f64_e32 v[10:11], v[10:11], v[18:19]
	v_mul_f64 v[18:19], v[16:17], v[10:11]
	v_fma_f64 v[8:9], -v[8:9], v[18:19], v[16:17]
	v_div_fmas_f64 v[8:9], v[8:9], v[10:11], v[18:19]
	v_div_fixup_f64 v[10:11], v[8:9], v[2:3], v[0:1]
	v_fma_f64 v[8:9], v[0:1], v[10:11], v[2:3]
	v_div_scale_f64 v[16:17], s[6:7], v[8:9], v[8:9], 1.0
	v_rcp_f64_e32 v[18:19], v[16:17]
	v_fma_f64 v[20:21], -v[16:17], v[18:19], 1.0
	v_fmac_f64_e32 v[18:19], v[18:19], v[20:21]
	v_fma_f64 v[20:21], -v[16:17], v[18:19], 1.0
	v_fmac_f64_e32 v[18:19], v[18:19], v[20:21]
	v_div_scale_f64 v[20:21], vcc, 1.0, v[8:9], 1.0
	v_mul_f64 v[22:23], v[20:21], v[18:19]
	v_fma_f64 v[16:17], -v[16:17], v[22:23], v[20:21]
	s_nop 1
	v_div_fmas_f64 v[16:17], v[16:17], v[18:19], v[22:23]
	v_div_fixup_f64 v[8:9], v[16:17], v[8:9], 1.0
	v_mul_f64 v[10:11], v[10:11], v[8:9]
	v_xor_b32_e32 v9, 0x80000000, v9
	s_cbranch_execz .LBB3_12
	s_branch .LBB3_13
.LBB3_10:                               ;   in Loop: Header=BB3_7 Depth=1
                                        ; implicit-def: $sgpr10
                                        ; implicit-def: $vgpr8_vgpr9
                                        ; implicit-def: $vgpr10_vgpr11
	s_branch .LBB3_14
.LBB3_11:                               ;   in Loop: Header=BB3_7 Depth=1
                                        ; implicit-def: $vgpr8_vgpr9
                                        ; implicit-def: $vgpr10_vgpr11
.LBB3_12:                               ;   in Loop: Header=BB3_7 Depth=1
	v_div_scale_f64 v[8:9], s[6:7], v[0:1], v[0:1], v[2:3]
	v_rcp_f64_e32 v[10:11], v[8:9]
	v_div_scale_f64 v[16:17], vcc, v[2:3], v[0:1], v[2:3]
	v_fma_f64 v[18:19], -v[8:9], v[10:11], 1.0
	v_fmac_f64_e32 v[10:11], v[10:11], v[18:19]
	v_fma_f64 v[18:19], -v[8:9], v[10:11], 1.0
	v_fmac_f64_e32 v[10:11], v[10:11], v[18:19]
	v_mul_f64 v[18:19], v[16:17], v[10:11]
	v_fma_f64 v[8:9], -v[8:9], v[18:19], v[16:17]
	v_div_fmas_f64 v[8:9], v[8:9], v[10:11], v[18:19]
	v_div_fixup_f64 v[8:9], v[8:9], v[0:1], v[2:3]
	v_fma_f64 v[10:11], v[2:3], v[8:9], v[0:1]
	v_div_scale_f64 v[16:17], s[6:7], v[10:11], v[10:11], 1.0
	v_rcp_f64_e32 v[18:19], v[16:17]
	v_fma_f64 v[20:21], -v[16:17], v[18:19], 1.0
	v_fmac_f64_e32 v[18:19], v[18:19], v[20:21]
	v_fma_f64 v[20:21], -v[16:17], v[18:19], 1.0
	v_fmac_f64_e32 v[18:19], v[18:19], v[20:21]
	v_div_scale_f64 v[20:21], vcc, 1.0, v[10:11], 1.0
	v_mul_f64 v[22:23], v[20:21], v[18:19]
	v_fma_f64 v[16:17], -v[16:17], v[22:23], v[20:21]
	s_nop 1
	v_div_fmas_f64 v[16:17], v[16:17], v[18:19], v[22:23]
	v_div_fixup_f64 v[10:11], v[16:17], v[10:11], 1.0
	v_mul_f64 v[8:9], v[8:9], -v[10:11]
.LBB3_13:                               ;   in Loop: Header=BB3_7 Depth=1
	s_cbranch_execnz .LBB3_15
.LBB3_14:                               ;   in Loop: Header=BB3_7 Depth=1
	s_add_i32 s10, s28, 1
	v_pk_mov_b32 v[10:11], v[0:1], v[0:1] op_sel:[0,1]
	v_pk_mov_b32 v[8:9], v[2:3], v[2:3] op_sel:[0,1]
.LBB3_15:                               ;   in Loop: Header=BB3_7 Depth=1
	v_cmp_ne_u32_e32 vcc, s28, v4
	s_and_saveexec_b64 s[6:7], vcc
	s_cbranch_execnz .LBB3_26
; %bb.16:                               ;   in Loop: Header=BB3_7 Depth=1
	s_or_b64 exec, exec, s[6:7]
	s_and_saveexec_b64 s[6:7], s[16:17]
	s_cbranch_execz .LBB3_18
.LBB3_17:                               ;   in Loop: Header=BB3_7 Depth=1
	v_add_u32_e32 v0, s28, v13
	v_ashrrev_i32_e32 v1, 31, v0
	v_lshlrev_b64 v[0:1], 4, v[0:1]
	v_mov_b32_e32 v2, s13
	v_add_co_u32_e32 v0, vcc, s12, v0
	v_addc_co_u32_e32 v1, vcc, v2, v1, vcc
	global_load_dwordx4 v[0:3], v[0:1], off
	s_waitcnt vmcnt(0)
	ds_write2_b64 v14, v[0:1], v[2:3] offset1:1
.LBB3_18:                               ;   in Loop: Header=BB3_7 Depth=1
	s_or_b64 exec, exec, s[6:7]
	v_cmp_lt_u32_e32 vcc, s28, v4
	s_and_b64 s[18:19], s[2:3], vcc
	s_waitcnt lgkmcnt(0)
	s_barrier
	s_and_saveexec_b64 s[6:7], s[18:19]
	s_cbranch_execz .LBB3_24
; %bb.19:                               ;   in Loop: Header=BB3_7 Depth=1
	v_add_u32_e32 v2, s28, v15
	v_cmp_gt_i32_e32 vcc, s11, v2
	s_and_saveexec_b64 s[18:19], vcc
	s_cbranch_execz .LBB3_22
; %bb.20:                               ;   in Loop: Header=BB3_7 Depth=1
	s_mov_b64 s[20:21], 0
	v_mov_b32_e32 v3, v7
	v_mov_b32_e32 v0, v6
.LBB3_21:                               ;   Parent Loop BB3_7 Depth=1
                                        ; =>  This Inner Loop Header: Depth=2
	v_ashrrev_i32_e32 v1, 31, v0
	v_lshlrev_b64 v[16:17], 4, v[0:1]
	v_mov_b32_e32 v18, s13
	v_add_co_u32_e32 v24, vcc, s12, v16
	v_addc_co_u32_e32 v25, vcc, v18, v17, vcc
	global_load_dwordx4 v[16:19], v[24:25], off
	ds_read2_b64 v[20:23], v3 offset1:1
	v_add_u32_e32 v2, s23, v2
	v_cmp_le_i32_e32 vcc, s11, v2
	v_add_u32_e32 v3, s27, v3
	v_add_u32_e32 v0, s26, v0
	s_waitcnt lgkmcnt(0)
	v_mul_f64 v[26:27], v[8:9], v[22:23]
	v_mul_f64 v[22:23], v[10:11], v[22:23]
	v_fma_f64 v[26:27], v[10:11], v[20:21], -v[26:27]
	v_fmac_f64_e32 v[22:23], v[8:9], v[20:21]
	s_or_b64 s[20:21], vcc, s[20:21]
	s_waitcnt vmcnt(0)
	v_add_f64 v[16:17], v[16:17], -v[26:27]
	v_add_f64 v[18:19], v[18:19], -v[22:23]
	global_store_dwordx4 v[24:25], v[16:19], off
	s_andn2_b64 exec, exec, s[20:21]
	s_cbranch_execnz .LBB3_21
.LBB3_22:                               ;   in Loop: Header=BB3_7 Depth=1
	s_or_b64 exec, exec, s[18:19]
	s_cmp_lt_i32 s28, s24
	s_cselect_b64 s[18:19], -1, 0
	s_and_b64 s[18:19], s[0:1], s[18:19]
	s_and_b64 exec, exec, s[18:19]
	s_cbranch_execz .LBB3_24
; %bb.23:                               ;   in Loop: Header=BB3_7 Depth=1
	s_add_i32 s18, s28, 1
	s_mul_i32 s18, s18, s22
	v_add_u32_e32 v0, s18, v4
	v_ashrrev_i32_e32 v1, 31, v0
	v_lshlrev_b64 v[0:1], 4, v[0:1]
	v_mov_b32_e32 v2, s13
	v_add_co_u32_e32 v20, vcc, s12, v0
	v_addc_co_u32_e32 v21, vcc, v2, v1, vcc
	global_load_dwordx4 v[0:3], v[20:21], off
	s_add_i32 s15, s25, s15
	v_mov_b32_e32 v16, s15
	ds_read2_b64 v[16:19], v16 offset1:1
	s_waitcnt lgkmcnt(0)
	v_mul_f64 v[22:23], v[8:9], v[18:19]
	v_mul_f64 v[18:19], v[10:11], v[18:19]
	v_fma_f64 v[10:11], v[10:11], v[16:17], -v[22:23]
	v_fmac_f64_e32 v[18:19], v[8:9], v[16:17]
	s_waitcnt vmcnt(0)
	v_add_f64 v[0:1], v[0:1], -v[10:11]
	v_add_f64 v[2:3], v[2:3], -v[18:19]
	global_store_dwordx4 v[20:21], v[0:3], off
	ds_write2_b64 v12, v[0:1], v[2:3] offset1:1
.LBB3_24:                               ;   in Loop: Header=BB3_7 Depth=1
	s_or_b64 exec, exec, s[6:7]
	v_cmp_ge_u32_e32 vcc, s28, v4
	s_and_b64 s[18:19], s[0:1], vcc
	s_and_saveexec_b64 s[6:7], s[18:19]
	s_cbranch_execz .LBB3_6
; %bb.25:                               ;   in Loop: Header=BB3_7 Depth=1
	s_mov_b32 s15, s14
	s_mov_b32 s18, s14
	;; [unrolled: 1-line block ×3, first 2 shown]
	v_pk_mov_b32 v[0:1], s[14:15], s[14:15] op_sel:[0,1]
	v_pk_mov_b32 v[2:3], s[18:19], s[18:19] op_sel:[0,1]
	ds_write2_b64 v12, v[0:1], v[2:3] offset1:1
	s_branch .LBB3_6
.LBB3_26:                               ;   in Loop: Header=BB3_7 Depth=1
	ds_read2_b64 v[16:19], v12 offset1:1
	v_cmp_le_u32_e32 vcc, s28, v4
	s_and_b64 s[18:19], s[2:3], vcc
	s_and_b64 s[20:21], s[0:1], s[18:19]
	s_waitcnt lgkmcnt(0)
	v_mul_f64 v[0:1], v[8:9], v[18:19]
	v_mul_f64 v[2:3], v[10:11], v[18:19]
	v_fma_f64 v[0:1], v[10:11], v[16:17], -v[0:1]
	v_fmac_f64_e32 v[2:3], v[8:9], v[16:17]
	s_and_saveexec_b64 s[18:19], s[20:21]
	s_cbranch_execz .LBB3_28
; %bb.27:                               ;   in Loop: Header=BB3_7 Depth=1
	s_mul_i32 s20, s28, s22
	v_add_u32_e32 v8, s20, v4
	v_ashrrev_i32_e32 v9, 31, v8
	v_lshlrev_b64 v[8:9], 4, v[8:9]
	v_mov_b32_e32 v10, s13
	v_add_co_u32_e32 v8, vcc, s12, v8
	v_addc_co_u32_e32 v9, vcc, v10, v9, vcc
	global_store_dwordx4 v[8:9], v[0:3], off
.LBB3_28:                               ;   in Loop: Header=BB3_7 Depth=1
	s_or_b64 exec, exec, s[18:19]
	v_pk_mov_b32 v[10:11], v[0:1], v[0:1] op_sel:[0,1]
	v_pk_mov_b32 v[8:9], v[2:3], v[2:3] op_sel:[0,1]
	s_or_b64 exec, exec, s[6:7]
	s_and_saveexec_b64 s[6:7], s[16:17]
	s_cbranch_execnz .LBB3_17
	s_branch .LBB3_18
.LBB3_29:
	s_mov_b32 s10, 0
.LBB3_30:
	v_cmp_eq_u32_e32 vcc, 0, v4
	s_and_saveexec_b64 s[0:1], vcc
	s_cbranch_execz .LBB3_33
; %bb.31:
	s_load_dwordx2 s[0:1], s[4:5], 0x28
	s_lshl_b64 s[2:3], s[8:9], 2
	v_mov_b32_e32 v0, 0
	s_waitcnt lgkmcnt(0)
	s_add_u32 s0, s0, s2
	s_addc_u32 s1, s1, s3
	global_load_dword v1, v0, s[0:1]
	s_cmp_gt_i32 s10, 0
	s_cselect_b64 s[2:3], -1, 0
	s_waitcnt vmcnt(0)
	v_or_b32_e32 v1, v1, v5
	v_cmp_eq_u32_e32 vcc, 0, v1
	s_and_b64 s[2:3], vcc, s[2:3]
	s_and_b64 exec, exec, s[2:3]
	s_cbranch_execz .LBB3_33
; %bb.32:
	s_load_dword s2, s[4:5], 0x34
	s_waitcnt lgkmcnt(0)
	s_add_i32 s2, s10, s2
	v_mov_b32_e32 v1, s2
	global_store_dword v0, v1, s[0:1]
.LBB3_33:
	s_endpgm
	.section	.rodata,"a",@progbits
	.p2align	6, 0x0
	.amdhsa_kernel _ZN9rocsolver6v33100L23getf2_npvt_panel_kernelI19rocblas_complex_numIdEiiPKPS3_EEvT0_S7_T2_lS7_lPT1_S7_S7_
		.amdhsa_group_segment_fixed_size 0
		.amdhsa_private_segment_fixed_size 0
		.amdhsa_kernarg_size 312
		.amdhsa_user_sgpr_count 6
		.amdhsa_user_sgpr_private_segment_buffer 1
		.amdhsa_user_sgpr_dispatch_ptr 0
		.amdhsa_user_sgpr_queue_ptr 0
		.amdhsa_user_sgpr_kernarg_segment_ptr 1
		.amdhsa_user_sgpr_dispatch_id 0
		.amdhsa_user_sgpr_flat_scratch_init 0
		.amdhsa_user_sgpr_kernarg_preload_length 0
		.amdhsa_user_sgpr_kernarg_preload_offset 0
		.amdhsa_user_sgpr_private_segment_size 0
		.amdhsa_uses_dynamic_stack 0
		.amdhsa_system_sgpr_private_segment_wavefront_offset 0
		.amdhsa_system_sgpr_workgroup_id_x 1
		.amdhsa_system_sgpr_workgroup_id_y 0
		.amdhsa_system_sgpr_workgroup_id_z 1
		.amdhsa_system_sgpr_workgroup_info 0
		.amdhsa_system_vgpr_workitem_id 1
		.amdhsa_next_free_vgpr 28
		.amdhsa_next_free_sgpr 29
		.amdhsa_accum_offset 28
		.amdhsa_reserve_vcc 1
		.amdhsa_reserve_flat_scratch 0
		.amdhsa_float_round_mode_32 0
		.amdhsa_float_round_mode_16_64 0
		.amdhsa_float_denorm_mode_32 3
		.amdhsa_float_denorm_mode_16_64 3
		.amdhsa_dx10_clamp 1
		.amdhsa_ieee_mode 1
		.amdhsa_fp16_overflow 0
		.amdhsa_tg_split 0
		.amdhsa_exception_fp_ieee_invalid_op 0
		.amdhsa_exception_fp_denorm_src 0
		.amdhsa_exception_fp_ieee_div_zero 0
		.amdhsa_exception_fp_ieee_overflow 0
		.amdhsa_exception_fp_ieee_underflow 0
		.amdhsa_exception_fp_ieee_inexact 0
		.amdhsa_exception_int_div_zero 0
	.end_amdhsa_kernel
	.section	.text._ZN9rocsolver6v33100L23getf2_npvt_panel_kernelI19rocblas_complex_numIdEiiPKPS3_EEvT0_S7_T2_lS7_lPT1_S7_S7_,"axG",@progbits,_ZN9rocsolver6v33100L23getf2_npvt_panel_kernelI19rocblas_complex_numIdEiiPKPS3_EEvT0_S7_T2_lS7_lPT1_S7_S7_,comdat
.Lfunc_end3:
	.size	_ZN9rocsolver6v33100L23getf2_npvt_panel_kernelI19rocblas_complex_numIdEiiPKPS3_EEvT0_S7_T2_lS7_lPT1_S7_S7_, .Lfunc_end3-_ZN9rocsolver6v33100L23getf2_npvt_panel_kernelI19rocblas_complex_numIdEiiPKPS3_EEvT0_S7_T2_lS7_lPT1_S7_S7_
                                        ; -- End function
	.section	.AMDGPU.csdata,"",@progbits
; Kernel info:
; codeLenInByte = 1548
; NumSgprs: 33
; NumVgprs: 28
; NumAgprs: 0
; TotalNumVgprs: 28
; ScratchSize: 0
; MemoryBound: 1
; FloatMode: 240
; IeeeMode: 1
; LDSByteSize: 0 bytes/workgroup (compile time only)
; SGPRBlocks: 4
; VGPRBlocks: 3
; NumSGPRsForWavesPerEU: 33
; NumVGPRsForWavesPerEU: 28
; AccumOffset: 28
; Occupancy: 8
; WaveLimiterHint : 1
; COMPUTE_PGM_RSRC2:SCRATCH_EN: 0
; COMPUTE_PGM_RSRC2:USER_SGPR: 6
; COMPUTE_PGM_RSRC2:TRAP_HANDLER: 0
; COMPUTE_PGM_RSRC2:TGID_X_EN: 1
; COMPUTE_PGM_RSRC2:TGID_Y_EN: 0
; COMPUTE_PGM_RSRC2:TGID_Z_EN: 1
; COMPUTE_PGM_RSRC2:TIDIG_COMP_CNT: 1
; COMPUTE_PGM_RSRC3_GFX90A:ACCUM_OFFSET: 6
; COMPUTE_PGM_RSRC3_GFX90A:TG_SPLIT: 0
	.section	.text._ZN9rocsolver6v33100L25getf2_scale_update_kernelI19rocblas_complex_numIdEiPS3_EEvT0_S5_PT_T1_lS5_l,"axG",@progbits,_ZN9rocsolver6v33100L25getf2_scale_update_kernelI19rocblas_complex_numIdEiPS3_EEvT0_S5_PT_T1_lS5_l,comdat
	.globl	_ZN9rocsolver6v33100L25getf2_scale_update_kernelI19rocblas_complex_numIdEiPS3_EEvT0_S5_PT_T1_lS5_l ; -- Begin function _ZN9rocsolver6v33100L25getf2_scale_update_kernelI19rocblas_complex_numIdEiPS3_EEvT0_S5_PT_T1_lS5_l
	.p2align	8
	.type	_ZN9rocsolver6v33100L25getf2_scale_update_kernelI19rocblas_complex_numIdEiPS3_EEvT0_S5_PT_T1_lS5_l,@function
_ZN9rocsolver6v33100L25getf2_scale_update_kernelI19rocblas_complex_numIdEiPS3_EEvT0_S5_PT_T1_lS5_l: ; @_ZN9rocsolver6v33100L25getf2_scale_update_kernelI19rocblas_complex_numIdEiPS3_EEvT0_S5_PT_T1_lS5_l
; %bb.0:
	s_mov_b32 s10, s7
	s_load_dwordx2 s[0:1], s[4:5], 0x18
	s_load_dword s8, s[4:5], 0x20
	s_load_dwordx2 s[14:15], s[4:5], 0x28
	s_load_dword s7, s[4:5], 0x3c
	s_load_dwordx2 s[2:3], s[4:5], 0x0
	s_load_dwordx4 s[16:19], s[4:5], 0x8
	s_ashr_i32 s11, s10, 31
	s_waitcnt lgkmcnt(0)
	s_mul_i32 s4, s10, s15
	s_mul_hi_u32 s5, s10, s14
	s_add_i32 s4, s5, s4
	s_mul_i32 s5, s11, s14
	s_add_i32 s5, s4, s5
	s_mul_i32 s4, s10, s14
	s_ashr_i32 s9, s8, 31
	s_lshr_b32 s12, s7, 16
	s_and_b32 s13, s7, 0xffff
	s_lshl_b64 s[4:5], s[4:5], 4
	s_add_u32 s7, s18, s4
	v_and_b32_e32 v4, 0x3ff, v0
	v_bfe_u32 v6, v0, 10, 10
	s_addc_u32 s14, s19, s5
	s_lshl_b64 s[4:5], s[10:11], 4
	s_add_u32 s4, s16, s4
	v_mad_u32_u24 v0, v4, s12, v6
	s_addc_u32 s5, s17, s5
	v_cmp_gt_i32_e32 vcc, s3, v0
	s_and_saveexec_b64 s[10:11], vcc
	s_cbranch_execz .LBB4_2
; %bb.1:
	s_lshl_b32 s15, s13, 4
	s_add_i32 s15, s15, 0
	s_lshl_b64 s[16:17], s[8:9], 4
	s_add_u32 s18, s7, s16
	s_addc_u32 s19, s14, s17
	s_lshl_b64 s[16:17], s[0:1], 4
	v_mul_lo_u32 v2, v0, s8
	s_add_u32 s16, s18, s16
	v_ashrrev_i32_e32 v3, 31, v2
	s_addc_u32 s17, s19, s17
	v_lshlrev_b64 v[2:3], 4, v[2:3]
	v_mov_b32_e32 v1, s17
	v_add_co_u32_e32 v2, vcc, s16, v2
	v_addc_co_u32_e32 v3, vcc, v1, v3, vcc
	global_load_dwordx4 v[8:11], v[2:3], off
	v_lshl_add_u32 v0, v0, 4, s15
	s_waitcnt vmcnt(0)
	ds_write2_b64 v0, v[8:9], v[10:11] offset1:1
.LBB4_2:
	s_or_b64 exec, exec, s[10:11]
	s_mul_i32 s10, s6, s13
	s_lshl_b64 s[0:1], s[0:1], 4
	v_add_u32_e32 v0, s10, v4
	s_add_u32 s11, s7, s0
	s_addc_u32 s14, s14, s1
	v_cmp_eq_u32_e64 s[0:1], 0, v6
	v_cmp_gt_i32_e32 vcc, s2, v0
	s_and_b64 s[0:1], s[0:1], vcc
	v_lshl_add_u32 v2, v4, 4, 0
	s_and_saveexec_b64 s[6:7], s[0:1]
	s_cbranch_execz .LBB4_4
; %bb.3:
	v_ashrrev_i32_e32 v1, 31, v0
	v_lshlrev_b64 v[0:1], 4, v[0:1]
	v_mov_b32_e32 v3, s14
	v_add_co_u32_e64 v0, s[0:1], s11, v0
	v_addc_co_u32_e64 v1, s[0:1], v3, v1, s[0:1]
	global_load_dwordx4 v[8:11], v[0:1], off offset:16
	s_load_dwordx4 s[16:19], s[4:5], 0x0
	s_waitcnt vmcnt(0) lgkmcnt(0)
	v_mul_f64 v[14:15], s[18:19], v[10:11]
	v_mul_f64 v[12:13], s[16:17], v[10:11]
	v_fma_f64 v[10:11], s[16:17], v[8:9], -v[14:15]
	v_fmac_f64_e32 v[12:13], s[18:19], v[8:9]
	ds_write2_b64 v2, v[10:11], v[12:13] offset1:1
	global_store_dwordx4 v[0:1], v[10:13], off offset:16
.LBB4_4:
	s_or_b64 exec, exec, s[6:7]
	v_cmp_gt_i32_e64 s[0:1], s3, v6
	s_and_b64 s[0:1], vcc, s[0:1]
	s_waitcnt lgkmcnt(0)
	s_barrier
	s_and_saveexec_b64 s[4:5], s[0:1]
	s_cbranch_execz .LBB4_7
; %bb.5:
	s_lshl_b64 s[0:1], s[8:9], 4
	s_add_u32 s0, s11, s0
	s_addc_u32 s1, s14, s1
	ds_read2_b64 v[0:3], v2 offset1:1
	s_add_u32 s2, s0, 16
	s_addc_u32 s6, s1, 0
	s_lshl_b32 s0, s13, 4
	v_mul_lo_u32 v5, v6, s8
	s_add_i32 s0, s0, 0
	v_add3_u32 v4, v4, v5, s10
	s_mul_i32 s4, s8, s12
	v_lshl_add_u32 v7, v6, 4, s0
	s_lshl_b32 s5, s12, 4
	s_mov_b64 s[0:1], 0
	v_mov_b32_e32 v8, s6
.LBB4_6:                                ; =>This Inner Loop Header: Depth=1
	v_ashrrev_i32_e32 v5, 31, v4
	v_lshlrev_b64 v[10:11], 4, v[4:5]
	v_add_co_u32_e32 v18, vcc, s2, v10
	v_addc_co_u32_e32 v19, vcc, v8, v11, vcc
	global_load_dwordx4 v[10:13], v[18:19], off
	ds_read2_b64 v[14:17], v7 offset1:1
	v_add_u32_e32 v6, s12, v6
	v_cmp_le_i32_e32 vcc, s3, v6
	v_add_u32_e32 v7, s5, v7
	v_add_u32_e32 v4, s4, v4
	s_waitcnt lgkmcnt(0)
	v_mul_f64 v[20:21], v[16:17], v[2:3]
	v_mul_f64 v[22:23], v[14:15], v[2:3]
	v_fma_f64 v[14:15], v[14:15], v[0:1], -v[20:21]
	v_fmac_f64_e32 v[22:23], v[16:17], v[0:1]
	s_or_b64 s[0:1], vcc, s[0:1]
	s_waitcnt vmcnt(0)
	v_add_f64 v[10:11], v[10:11], -v[14:15]
	v_add_f64 v[12:13], v[12:13], -v[22:23]
	global_store_dwordx4 v[18:19], v[10:13], off
	s_andn2_b64 exec, exec, s[0:1]
	s_cbranch_execnz .LBB4_6
.LBB4_7:
	s_endpgm
	.section	.rodata,"a",@progbits
	.p2align	6, 0x0
	.amdhsa_kernel _ZN9rocsolver6v33100L25getf2_scale_update_kernelI19rocblas_complex_numIdEiPS3_EEvT0_S5_PT_T1_lS5_l
		.amdhsa_group_segment_fixed_size 0
		.amdhsa_private_segment_fixed_size 0
		.amdhsa_kernarg_size 304
		.amdhsa_user_sgpr_count 6
		.amdhsa_user_sgpr_private_segment_buffer 1
		.amdhsa_user_sgpr_dispatch_ptr 0
		.amdhsa_user_sgpr_queue_ptr 0
		.amdhsa_user_sgpr_kernarg_segment_ptr 1
		.amdhsa_user_sgpr_dispatch_id 0
		.amdhsa_user_sgpr_flat_scratch_init 0
		.amdhsa_user_sgpr_kernarg_preload_length 0
		.amdhsa_user_sgpr_kernarg_preload_offset 0
		.amdhsa_user_sgpr_private_segment_size 0
		.amdhsa_uses_dynamic_stack 0
		.amdhsa_system_sgpr_private_segment_wavefront_offset 0
		.amdhsa_system_sgpr_workgroup_id_x 1
		.amdhsa_system_sgpr_workgroup_id_y 0
		.amdhsa_system_sgpr_workgroup_id_z 1
		.amdhsa_system_sgpr_workgroup_info 0
		.amdhsa_system_vgpr_workitem_id 1
		.amdhsa_next_free_vgpr 24
		.amdhsa_next_free_sgpr 20
		.amdhsa_accum_offset 24
		.amdhsa_reserve_vcc 1
		.amdhsa_reserve_flat_scratch 0
		.amdhsa_float_round_mode_32 0
		.amdhsa_float_round_mode_16_64 0
		.amdhsa_float_denorm_mode_32 3
		.amdhsa_float_denorm_mode_16_64 3
		.amdhsa_dx10_clamp 1
		.amdhsa_ieee_mode 1
		.amdhsa_fp16_overflow 0
		.amdhsa_tg_split 0
		.amdhsa_exception_fp_ieee_invalid_op 0
		.amdhsa_exception_fp_denorm_src 0
		.amdhsa_exception_fp_ieee_div_zero 0
		.amdhsa_exception_fp_ieee_overflow 0
		.amdhsa_exception_fp_ieee_underflow 0
		.amdhsa_exception_fp_ieee_inexact 0
		.amdhsa_exception_int_div_zero 0
	.end_amdhsa_kernel
	.section	.text._ZN9rocsolver6v33100L25getf2_scale_update_kernelI19rocblas_complex_numIdEiPS3_EEvT0_S5_PT_T1_lS5_l,"axG",@progbits,_ZN9rocsolver6v33100L25getf2_scale_update_kernelI19rocblas_complex_numIdEiPS3_EEvT0_S5_PT_T1_lS5_l,comdat
.Lfunc_end4:
	.size	_ZN9rocsolver6v33100L25getf2_scale_update_kernelI19rocblas_complex_numIdEiPS3_EEvT0_S5_PT_T1_lS5_l, .Lfunc_end4-_ZN9rocsolver6v33100L25getf2_scale_update_kernelI19rocblas_complex_numIdEiPS3_EEvT0_S5_PT_T1_lS5_l
                                        ; -- End function
	.section	.AMDGPU.csdata,"",@progbits
; Kernel info:
; codeLenInByte = 640
; NumSgprs: 24
; NumVgprs: 24
; NumAgprs: 0
; TotalNumVgprs: 24
; ScratchSize: 0
; MemoryBound: 0
; FloatMode: 240
; IeeeMode: 1
; LDSByteSize: 0 bytes/workgroup (compile time only)
; SGPRBlocks: 2
; VGPRBlocks: 2
; NumSGPRsForWavesPerEU: 24
; NumVGPRsForWavesPerEU: 24
; AccumOffset: 24
; Occupancy: 8
; WaveLimiterHint : 0
; COMPUTE_PGM_RSRC2:SCRATCH_EN: 0
; COMPUTE_PGM_RSRC2:USER_SGPR: 6
; COMPUTE_PGM_RSRC2:TRAP_HANDLER: 0
; COMPUTE_PGM_RSRC2:TGID_X_EN: 1
; COMPUTE_PGM_RSRC2:TGID_Y_EN: 0
; COMPUTE_PGM_RSRC2:TGID_Z_EN: 1
; COMPUTE_PGM_RSRC2:TIDIG_COMP_CNT: 1
; COMPUTE_PGM_RSRC3_GFX90A:ACCUM_OFFSET: 5
; COMPUTE_PGM_RSRC3_GFX90A:TG_SPLIT: 0
	.section	.text._ZN9rocsolver6v33100L25getf2_scale_update_kernelI19rocblas_complex_numIdEiPKPS3_EEvT0_S7_PT_T1_lS7_l,"axG",@progbits,_ZN9rocsolver6v33100L25getf2_scale_update_kernelI19rocblas_complex_numIdEiPKPS3_EEvT0_S7_PT_T1_lS7_l,comdat
	.globl	_ZN9rocsolver6v33100L25getf2_scale_update_kernelI19rocblas_complex_numIdEiPKPS3_EEvT0_S7_PT_T1_lS7_l ; -- Begin function _ZN9rocsolver6v33100L25getf2_scale_update_kernelI19rocblas_complex_numIdEiPKPS3_EEvT0_S7_PT_T1_lS7_l
	.p2align	8
	.type	_ZN9rocsolver6v33100L25getf2_scale_update_kernelI19rocblas_complex_numIdEiPKPS3_EEvT0_S7_PT_T1_lS7_l,@function
_ZN9rocsolver6v33100L25getf2_scale_update_kernelI19rocblas_complex_numIdEiPKPS3_EEvT0_S7_PT_T1_lS7_l: ; @_ZN9rocsolver6v33100L25getf2_scale_update_kernelI19rocblas_complex_numIdEiPKPS3_EEvT0_S7_PT_T1_lS7_l
; %bb.0:
	s_mov_b32 s12, s7
	s_load_dword s8, s[4:5], 0x20
	s_load_dwordx2 s[0:1], s[4:5], 0x18
	s_load_dword s7, s[4:5], 0x3c
	s_load_dwordx2 s[2:3], s[4:5], 0x0
	s_load_dwordx4 s[16:19], s[4:5], 0x8
	s_ashr_i32 s13, s12, 31
	s_waitcnt lgkmcnt(0)
	s_ashr_i32 s9, s8, 31
	s_lshr_b32 s14, s7, 16
	s_and_b32 s15, s7, 0xffff
	s_lshl_b64 s[4:5], s[12:13], 3
	s_add_u32 s4, s18, s4
	s_addc_u32 s5, s19, s5
	s_load_dwordx2 s[10:11], s[4:5], 0x0
	v_and_b32_e32 v4, 0x3ff, v0
	v_bfe_u32 v6, v0, 10, 10
	s_lshl_b64 s[4:5], s[12:13], 4
	s_add_u32 s4, s16, s4
	v_mad_u32_u24 v0, v4, s14, v6
	s_addc_u32 s5, s17, s5
	v_cmp_gt_i32_e32 vcc, s3, v0
	s_and_saveexec_b64 s[12:13], vcc
	s_cbranch_execz .LBB5_2
; %bb.1:
	s_lshl_b32 s7, s15, 4
	s_add_i32 s7, s7, 0
	s_lshl_b64 s[16:17], s[8:9], 4
	s_waitcnt lgkmcnt(0)
	s_add_u32 s18, s10, s16
	s_addc_u32 s19, s11, s17
	s_lshl_b64 s[16:17], s[0:1], 4
	v_mul_lo_u32 v2, v0, s8
	s_add_u32 s16, s18, s16
	v_ashrrev_i32_e32 v3, 31, v2
	s_addc_u32 s17, s19, s17
	v_lshlrev_b64 v[2:3], 4, v[2:3]
	v_mov_b32_e32 v1, s17
	v_add_co_u32_e32 v2, vcc, s16, v2
	v_addc_co_u32_e32 v3, vcc, v1, v3, vcc
	global_load_dwordx4 v[8:11], v[2:3], off
	v_lshl_add_u32 v0, v0, 4, s7
	s_waitcnt vmcnt(0)
	ds_write2_b64 v0, v[8:9], v[10:11] offset1:1
.LBB5_2:
	s_or_b64 exec, exec, s[12:13]
	s_mul_i32 s12, s6, s15
	s_lshl_b64 s[0:1], s[0:1], 4
	v_add_u32_e32 v0, s12, v4
	s_waitcnt lgkmcnt(0)
	s_add_u32 s10, s10, s0
	s_addc_u32 s11, s11, s1
	v_cmp_eq_u32_e64 s[0:1], 0, v6
	v_cmp_gt_i32_e32 vcc, s2, v0
	s_and_b64 s[0:1], s[0:1], vcc
	v_lshl_add_u32 v2, v4, 4, 0
	s_and_saveexec_b64 s[6:7], s[0:1]
	s_cbranch_execz .LBB5_4
; %bb.3:
	v_ashrrev_i32_e32 v1, 31, v0
	v_lshlrev_b64 v[0:1], 4, v[0:1]
	v_mov_b32_e32 v3, s11
	v_add_co_u32_e64 v0, s[0:1], s10, v0
	v_addc_co_u32_e64 v1, s[0:1], v3, v1, s[0:1]
	global_load_dwordx4 v[8:11], v[0:1], off offset:16
	s_load_dwordx4 s[16:19], s[4:5], 0x0
	s_waitcnt vmcnt(0) lgkmcnt(0)
	v_mul_f64 v[14:15], s[18:19], v[10:11]
	v_mul_f64 v[12:13], s[16:17], v[10:11]
	v_fma_f64 v[10:11], s[16:17], v[8:9], -v[14:15]
	v_fmac_f64_e32 v[12:13], s[18:19], v[8:9]
	ds_write2_b64 v2, v[10:11], v[12:13] offset1:1
	global_store_dwordx4 v[0:1], v[10:13], off offset:16
.LBB5_4:
	s_or_b64 exec, exec, s[6:7]
	v_cmp_gt_i32_e64 s[0:1], s3, v6
	s_and_b64 s[0:1], vcc, s[0:1]
	s_waitcnt lgkmcnt(0)
	s_barrier
	s_and_saveexec_b64 s[4:5], s[0:1]
	s_cbranch_execz .LBB5_7
; %bb.5:
	s_lshl_b64 s[0:1], s[8:9], 4
	s_add_u32 s0, s10, s0
	s_addc_u32 s1, s11, s1
	ds_read2_b64 v[0:3], v2 offset1:1
	s_add_u32 s2, s0, 16
	s_addc_u32 s6, s1, 0
	s_lshl_b32 s0, s15, 4
	v_mul_lo_u32 v5, v6, s8
	s_add_i32 s0, s0, 0
	v_add3_u32 v4, v4, v5, s12
	s_mul_i32 s4, s8, s14
	v_lshl_add_u32 v7, v6, 4, s0
	s_lshl_b32 s5, s14, 4
	s_mov_b64 s[0:1], 0
	v_mov_b32_e32 v8, s6
.LBB5_6:                                ; =>This Inner Loop Header: Depth=1
	v_ashrrev_i32_e32 v5, 31, v4
	v_lshlrev_b64 v[10:11], 4, v[4:5]
	v_add_co_u32_e32 v18, vcc, s2, v10
	v_addc_co_u32_e32 v19, vcc, v8, v11, vcc
	global_load_dwordx4 v[10:13], v[18:19], off
	ds_read2_b64 v[14:17], v7 offset1:1
	v_add_u32_e32 v6, s14, v6
	v_cmp_le_i32_e32 vcc, s3, v6
	v_add_u32_e32 v7, s5, v7
	v_add_u32_e32 v4, s4, v4
	s_waitcnt lgkmcnt(0)
	v_mul_f64 v[20:21], v[16:17], v[2:3]
	v_mul_f64 v[22:23], v[14:15], v[2:3]
	v_fma_f64 v[14:15], v[14:15], v[0:1], -v[20:21]
	v_fmac_f64_e32 v[22:23], v[16:17], v[0:1]
	s_or_b64 s[0:1], vcc, s[0:1]
	s_waitcnt vmcnt(0)
	v_add_f64 v[10:11], v[10:11], -v[14:15]
	v_add_f64 v[12:13], v[12:13], -v[22:23]
	global_store_dwordx4 v[18:19], v[10:13], off
	s_andn2_b64 exec, exec, s[0:1]
	s_cbranch_execnz .LBB5_6
.LBB5_7:
	s_endpgm
	.section	.rodata,"a",@progbits
	.p2align	6, 0x0
	.amdhsa_kernel _ZN9rocsolver6v33100L25getf2_scale_update_kernelI19rocblas_complex_numIdEiPKPS3_EEvT0_S7_PT_T1_lS7_l
		.amdhsa_group_segment_fixed_size 0
		.amdhsa_private_segment_fixed_size 0
		.amdhsa_kernarg_size 304
		.amdhsa_user_sgpr_count 6
		.amdhsa_user_sgpr_private_segment_buffer 1
		.amdhsa_user_sgpr_dispatch_ptr 0
		.amdhsa_user_sgpr_queue_ptr 0
		.amdhsa_user_sgpr_kernarg_segment_ptr 1
		.amdhsa_user_sgpr_dispatch_id 0
		.amdhsa_user_sgpr_flat_scratch_init 0
		.amdhsa_user_sgpr_kernarg_preload_length 0
		.amdhsa_user_sgpr_kernarg_preload_offset 0
		.amdhsa_user_sgpr_private_segment_size 0
		.amdhsa_uses_dynamic_stack 0
		.amdhsa_system_sgpr_private_segment_wavefront_offset 0
		.amdhsa_system_sgpr_workgroup_id_x 1
		.amdhsa_system_sgpr_workgroup_id_y 0
		.amdhsa_system_sgpr_workgroup_id_z 1
		.amdhsa_system_sgpr_workgroup_info 0
		.amdhsa_system_vgpr_workitem_id 1
		.amdhsa_next_free_vgpr 24
		.amdhsa_next_free_sgpr 20
		.amdhsa_accum_offset 24
		.amdhsa_reserve_vcc 1
		.amdhsa_reserve_flat_scratch 0
		.amdhsa_float_round_mode_32 0
		.amdhsa_float_round_mode_16_64 0
		.amdhsa_float_denorm_mode_32 3
		.amdhsa_float_denorm_mode_16_64 3
		.amdhsa_dx10_clamp 1
		.amdhsa_ieee_mode 1
		.amdhsa_fp16_overflow 0
		.amdhsa_tg_split 0
		.amdhsa_exception_fp_ieee_invalid_op 0
		.amdhsa_exception_fp_denorm_src 0
		.amdhsa_exception_fp_ieee_div_zero 0
		.amdhsa_exception_fp_ieee_overflow 0
		.amdhsa_exception_fp_ieee_underflow 0
		.amdhsa_exception_fp_ieee_inexact 0
		.amdhsa_exception_int_div_zero 0
	.end_amdhsa_kernel
	.section	.text._ZN9rocsolver6v33100L25getf2_scale_update_kernelI19rocblas_complex_numIdEiPKPS3_EEvT0_S7_PT_T1_lS7_l,"axG",@progbits,_ZN9rocsolver6v33100L25getf2_scale_update_kernelI19rocblas_complex_numIdEiPKPS3_EEvT0_S7_PT_T1_lS7_l,comdat
.Lfunc_end5:
	.size	_ZN9rocsolver6v33100L25getf2_scale_update_kernelI19rocblas_complex_numIdEiPKPS3_EEvT0_S7_PT_T1_lS7_l, .Lfunc_end5-_ZN9rocsolver6v33100L25getf2_scale_update_kernelI19rocblas_complex_numIdEiPKPS3_EEvT0_S7_PT_T1_lS7_l
                                        ; -- End function
	.section	.AMDGPU.csdata,"",@progbits
; Kernel info:
; codeLenInByte = 624
; NumSgprs: 24
; NumVgprs: 24
; NumAgprs: 0
; TotalNumVgprs: 24
; ScratchSize: 0
; MemoryBound: 0
; FloatMode: 240
; IeeeMode: 1
; LDSByteSize: 0 bytes/workgroup (compile time only)
; SGPRBlocks: 2
; VGPRBlocks: 2
; NumSGPRsForWavesPerEU: 24
; NumVGPRsForWavesPerEU: 24
; AccumOffset: 24
; Occupancy: 8
; WaveLimiterHint : 1
; COMPUTE_PGM_RSRC2:SCRATCH_EN: 0
; COMPUTE_PGM_RSRC2:USER_SGPR: 6
; COMPUTE_PGM_RSRC2:TRAP_HANDLER: 0
; COMPUTE_PGM_RSRC2:TGID_X_EN: 1
; COMPUTE_PGM_RSRC2:TGID_Y_EN: 0
; COMPUTE_PGM_RSRC2:TGID_Z_EN: 1
; COMPUTE_PGM_RSRC2:TIDIG_COMP_CNT: 1
; COMPUTE_PGM_RSRC3_GFX90A:ACCUM_OFFSET: 5
; COMPUTE_PGM_RSRC3_GFX90A:TG_SPLIT: 0
	.section	.text._ZN9rocsolver6v33100L18getf2_panel_kernelI19rocblas_complex_numIdEllPS3_EEvT0_S5_T2_lS5_lPS5_llPT1_S5_S5_S7_l,"axG",@progbits,_ZN9rocsolver6v33100L18getf2_panel_kernelI19rocblas_complex_numIdEllPS3_EEvT0_S5_T2_lS5_lPS5_llPT1_S5_S5_S7_l,comdat
	.globl	_ZN9rocsolver6v33100L18getf2_panel_kernelI19rocblas_complex_numIdEllPS3_EEvT0_S5_T2_lS5_lPS5_llPT1_S5_S5_S7_l ; -- Begin function _ZN9rocsolver6v33100L18getf2_panel_kernelI19rocblas_complex_numIdEllPS3_EEvT0_S5_T2_lS5_lPS5_llPT1_S5_S5_S7_l
	.p2align	8
	.type	_ZN9rocsolver6v33100L18getf2_panel_kernelI19rocblas_complex_numIdEllPS3_EEvT0_S5_T2_lS5_lPS5_llPT1_S5_S5_S7_l,@function
_ZN9rocsolver6v33100L18getf2_panel_kernelI19rocblas_complex_numIdEllPS3_EEvT0_S5_T2_lS5_lPS5_llPT1_S5_S5_S7_l: ; @_ZN9rocsolver6v33100L18getf2_panel_kernelI19rocblas_complex_numIdEllPS3_EEvT0_S5_T2_lS5_lPS5_llPT1_S5_S5_S7_l
; %bb.0:
	s_load_dwordx4 s[28:31], s[4:5], 0x58
	s_load_dwordx2 s[0:1], s[4:5], 0x68
	s_load_dword s45, s[4:5], 0x7c
	s_mov_b32 s34, s7
	s_mov_b32 s35, 0
	s_waitcnt lgkmcnt(0)
	s_cmp_eq_u64 s[30:31], 0
	s_cselect_b64 s[40:41], -1, 0
	s_mov_b64 s[42:43], 0
	s_and_b64 vcc, exec, s[40:41]
	s_cbranch_vccnz .LBB6_2
; %bb.1:
	s_mul_i32 s1, s34, s1
	s_mul_hi_u32 s2, s34, s0
	s_add_i32 s1, s2, s1
	s_mul_i32 s0, s34, s0
	s_lshl_b64 s[0:1], s[0:1], 3
	s_add_u32 s42, s30, s0
	s_addc_u32 s43, s31, s1
.LBB6_2:
	s_load_dwordx16 s[12:27], s[4:5], 0x0
	s_and_b32 s30, s45, 0xffff
	v_bfe_u32 v4, v0, 10, 10
	v_and_b32_e32 v8, 0x3ff, v0
	v_mov_b32_e32 v9, 0
	s_waitcnt lgkmcnt(0)
	s_mul_i32 s0, s34, s23
	s_mul_hi_u32 s1, s34, s22
	s_add_i32 s1, s1, s0
	s_mul_i32 s0, s34, s22
	s_lshl_b64 s[8:9], s[0:1], 4
	s_add_u32 s0, s16, s8
	s_addc_u32 s1, s17, s9
	s_lshl_b64 s[10:11], s[18:19], 4
	s_add_u32 s6, s0, s10
	s_addc_u32 s7, s1, s11
	s_lshl_b32 s0, s30, 4
	s_add_i32 s44, s0, 16
	s_lshl_b32 s0, s14, 4
	s_add_i32 s33, s44, s0
	s_lshl_b32 s0, s30, 3
	s_add_i32 s54, s33, s0
	v_cmp_eq_u32_e64 s[0:1], 0, v4
                                        ; implicit-def: $vgpr16_vgpr17
	s_and_saveexec_b64 s[2:3], s[0:1]
	s_cbranch_execz .LBB6_6
; %bb.3:
	v_pk_mov_b32 v[0:1], 0, 0
	v_cmp_gt_i64_e32 vcc, s[12:13], v[8:9]
	v_pk_mov_b32 v[2:3], v[0:1], v[0:1] op_sel:[0,1]
	s_and_saveexec_b64 s[18:19], vcc
	s_cbranch_execz .LBB6_5
; %bb.4:
	v_lshlrev_b32_e32 v0, 4, v8
	global_load_dwordx4 v[0:3], v0, s[6:7]
.LBB6_5:
	s_or_b64 exec, exec, s[18:19]
	v_lshl_add_u32 v5, v8, 4, 16
	s_waitcnt vmcnt(0)
	ds_write2_b64 v5, v[0:1], v[2:3] offset1:1
	v_xor_b32_e32 v5, 0x80000000, v1
	v_cmp_gt_f64_e32 vcc, 0, v[0:1]
	v_cndmask_b32_e32 v1, v1, v5, vcc
	v_cndmask_b32_e32 v0, v0, v0, vcc
	v_xor_b32_e32 v5, 0x80000000, v3
	v_cmp_gt_f64_e32 vcc, 0, v[2:3]
	v_cndmask_b32_e32 v3, v3, v5, vcc
	v_cndmask_b32_e32 v2, v2, v2, vcc
	v_add_f64 v[16:17], v[0:1], v[2:3]
	v_lshlrev_b32_e32 v0, 3, v8
	v_add_u32_e32 v1, s33, v0
	v_add_u32_e32 v0, s54, v0
	ds_write_b64 v1, v[16:17]
	ds_write_b64 v0, v[8:9]
.LBB6_6:
	s_or_b64 exec, exec, s[2:3]
	s_load_dwordx4 s[36:39], s[4:5], 0x40
	v_cmp_lt_i64_e64 s[2:3], s[14:15], 1
	s_and_b64 vcc, exec, s[2:3]
	s_cbranch_vccnz .LBB6_54
; %bb.7:
	s_waitcnt lgkmcnt(0)
	s_mul_i32 s2, s34, s37
	s_mul_hi_u32 s3, s34, s36
	s_add_i32 s3, s3, s2
	s_mul_i32 s2, s34, s36
	s_lshr_b32 s55, s45, 16
	s_lshl_b64 s[2:3], s[2:3], 3
	s_add_u32 s4, s24, s2
	v_lshlrev_b32_e32 v5, 4, v8
	s_addc_u32 s5, s25, s3
	s_lshl_b64 s[2:3], s[26:27], 3
	v_mov_b32_e32 v0, s7
	v_add_co_u32_e32 v13, vcc, s6, v5
	s_add_u32 s57, s4, s2
	v_addc_co_u32_e32 v26, vcc, 0, v0, vcc
	s_addc_u32 s58, s5, s3
	s_lshr_b32 s22, s30, 1
	v_or_b32_e32 v0, v8, v4
	s_cmp_gt_u32 s30, 1
	v_cmp_eq_u32_e64 s[2:3], 0, v0
	v_mad_u64_u32 v[0:1], s[30:31], v8, s20, 0
	v_mov_b32_e32 v2, v1
	v_mad_u64_u32 v[2:3], s[30:31], v8, s21, v[2:3]
	v_mov_b32_e32 v1, v2
	s_cselect_b64 s[24:25], -1, 0
	s_add_u32 s59, s28, 1
	v_cmp_gt_u64_e32 vcc, s[14:15], v[8:9]
	v_lshlrev_b64 v[0:1], 4, v[0:1]
	s_addc_u32 s60, s29, 0
	s_and_b64 s[26:27], s[0:1], vcc
	v_mov_b32_e32 v2, s7
	v_add_co_u32_e32 v30, vcc, s6, v0
	v_lshlrev_b32_e32 v6, 3, v8
	v_addc_co_u32_e32 v31, vcc, v2, v1, vcc
	v_add_u32_e32 v12, 2, v4
	v_mov_b32_e32 v0, s43
	v_add_co_u32_e32 v14, vcc, s42, v6
	v_addc_co_u32_e32 v15, vcc, 0, v0, vcc
	v_mad_u64_u32 v[0:1], s[30:31], s20, v12, 0
	v_cmp_gt_i64_e64 s[4:5], s[12:13], v[8:9]
	v_cmp_le_i64_e64 s[6:7], s[12:13], v[8:9]
	s_add_u32 s12, s14, -1
	v_mov_b32_e32 v2, v1
	s_addc_u32 s13, s15, -1
	s_add_i32 s61, s44, 16
	v_mad_u64_u32 v[2:3], s[30:31], s21, v12, v[2:3]
	v_mov_b32_e32 v1, v2
	s_add_u32 s8, s10, s8
	v_lshlrev_b64 v[0:1], 4, v[0:1]
	s_addc_u32 s9, s11, s9
	v_mov_b32_e32 v2, s9
	v_add_co_u32_e32 v0, vcc, s8, v0
	v_addc_co_u32_e32 v1, vcc, v2, v1, vcc
	v_add_co_u32_e32 v0, vcc, v0, v5
	v_addc_co_u32_e32 v1, vcc, 0, v1, vcc
	v_mov_b32_e32 v2, s17
	v_add_co_u32_e32 v0, vcc, s16, v0
	v_addc_co_u32_e32 v1, vcc, v1, v2, vcc
	s_mul_i32 s8, s21, s55
	s_mul_hi_u32 s9, s20, s55
	s_mov_b32 s18, 0
	v_add_co_u32_e32 v18, vcc, 8, v0
	s_add_i32 s9, s9, s8
	s_mul_i32 s8, s20, s55
	v_lshlrev_b32_e32 v0, 4, v4
	v_mov_b32_e32 v10, 0
	s_mov_b32 s56, s18
	s_mov_b32 s23, s18
	v_add_u32_e32 v27, s33, v6
	v_add_u32_e32 v28, s54, v6
	;; [unrolled: 1-line block ×4, first 2 shown]
	v_addc_co_u32_e32 v19, vcc, 0, v1, vcc
	s_lshl_b64 s[30:31], s[20:21], 4
	s_lshl_b64 s[36:37], s[8:9], 4
	v_add3_u32 v33, s44, v0, 32
	s_lshl_b32 s62, s55, 4
	s_mov_b64 s[16:17], 0
	s_mov_b64 s[44:45], src_shared_base
	s_mov_b64 s[46:47], 0
	s_branch .LBB6_9
.LBB6_8:                                ;   in Loop: Header=BB6_9 Depth=1
	s_or_b64 exec, exec, s[8:9]
	s_add_u32 s46, s46, 1
	s_addc_u32 s47, s47, 0
	v_mov_b32_e32 v0, s31
	v_add_co_u32_e32 v18, vcc, s30, v18
	v_addc_co_u32_e32 v19, vcc, v19, v0, vcc
	s_cmp_eq_u64 s[46:47], s[14:15]
	v_add_u32_e32 v33, 16, v33
	s_cbranch_scc1 .LBB6_55
.LBB6_9:                                ; =>This Loop Header: Depth=1
                                        ;     Child Loop BB6_16 Depth 2
                                        ;     Child Loop BB6_48 Depth 2
	s_andn2_b64 vcc, exec, s[24:25]
	s_mov_b64 s[10:11], s[22:23]
	v_pk_mov_b32 v[0:1], v[8:9], v[8:9] op_sel:[0,1]
	s_barrier
	s_cbranch_vccnz .LBB6_18
; %bb.10:                               ;   in Loop: Header=BB6_9 Depth=1
	v_cmp_gt_u64_e32 vcc, s[10:11], v[8:9]
	s_and_b64 s[8:9], s[0:1], vcc
	s_and_saveexec_b64 s[48:49], s[8:9]
	s_cbranch_execz .LBB6_16
.LBB6_11:                               ;   in Loop: Header=BB6_9 Depth=1
	s_lshl_b32 s8, s10, 3
	v_add_u32_e32 v2, s8, v27
	ds_read_b64 v[2:3], v2
	v_add_u32_e32 v4, s8, v28
	ds_read_b64 v[4:5], v4
	s_waitcnt lgkmcnt(0)
	v_cmp_lt_f64_e64 s[50:51], v[16:17], v[2:3]
	v_cmp_nlt_f64_e32 vcc, v[16:17], v[2:3]
	s_and_saveexec_b64 s[52:53], vcc
	s_cbranch_execz .LBB6_13
; %bb.12:                               ;   in Loop: Header=BB6_9 Depth=1
	v_cmp_eq_f64_e32 vcc, v[16:17], v[2:3]
	s_waitcnt lgkmcnt(0)
	v_cmp_gt_i64_e64 s[8:9], v[0:1], v[4:5]
	s_and_b64 s[8:9], vcc, s[8:9]
	s_andn2_b64 s[50:51], s[50:51], exec
	s_and_b64 s[8:9], s[8:9], exec
	s_or_b64 s[50:51], s[50:51], s[8:9]
.LBB6_13:                               ;   in Loop: Header=BB6_9 Depth=1
	s_or_b64 exec, exec, s[52:53]
	s_and_saveexec_b64 s[8:9], s[50:51]
	s_cbranch_execz .LBB6_15
; %bb.14:                               ;   in Loop: Header=BB6_9 Depth=1
	v_pk_mov_b32 v[16:17], v[2:3], v[2:3] op_sel:[0,1]
	s_waitcnt lgkmcnt(0)
	v_pk_mov_b32 v[0:1], v[4:5], v[4:5] op_sel:[0,1]
	ds_write_b64 v27, v[2:3]
	ds_write_b64 v28, v[4:5]
.LBB6_15:                               ;   in Loop: Header=BB6_9 Depth=1
	s_or_b64 exec, exec, s[8:9]
.LBB6_16:                               ;   Parent Loop BB6_9 Depth=1
                                        ; =>  This Inner Loop Header: Depth=2
	s_or_b64 exec, exec, s[48:49]
	s_lshr_b64 s[8:9], s[10:11], 1
	v_cmp_lt_u64_e64 s[10:11], s[10:11], 2
	s_and_b64 vcc, exec, s[10:11]
	s_waitcnt lgkmcnt(0)
	s_barrier
	s_cbranch_vccnz .LBB6_18
; %bb.17:                               ;   in Loop: Header=BB6_16 Depth=2
	s_mov_b64 s[10:11], s[8:9]
	v_cmp_gt_u64_e32 vcc, s[10:11], v[8:9]
	s_and_b64 s[8:9], s[0:1], vcc
	s_and_saveexec_b64 s[48:49], s[8:9]
	s_cbranch_execnz .LBB6_11
	s_branch .LBB6_16
.LBB6_18:                               ;   in Loop: Header=BB6_9 Depth=1
	v_mov_b32_e32 v0, s54
	ds_read_b64 v[0:1], v0
	s_waitcnt lgkmcnt(0)
	v_lshlrev_b32_e32 v2, 4, v0
	v_add_u32_e32 v2, 16, v2
	ds_read2_b64 v[4:7], v2 offset1:1
	v_readfirstlane_b32 s48, v0
	v_readfirstlane_b32 s49, v1
	s_waitcnt lgkmcnt(0)
	v_cmp_eq_f64_e32 vcc, 0, v[4:5]
	v_cmp_eq_f64_e64 s[8:9], 0, v[6:7]
	s_and_b64 s[8:9], vcc, s[8:9]
	s_andn2_b64 vcc, exec, s[8:9]
	s_cbranch_vccz .LBB6_21
; %bb.19:                               ;   in Loop: Header=BB6_9 Depth=1
	v_xor_b32_e32 v0, 0x80000000, v5
	v_cmp_gt_f64_e32 vcc, 0, v[4:5]
	v_cndmask_b32_e32 v1, v5, v0, vcc
	v_xor_b32_e32 v2, 0x80000000, v7
	v_cmp_gt_f64_e32 vcc, 0, v[6:7]
	v_mov_b32_e32 v0, v4
	v_cndmask_b32_e32 v3, v7, v2, vcc
	v_mov_b32_e32 v2, v6
	v_cmp_ngt_f64_e32 vcc, v[0:1], v[2:3]
	s_cbranch_vccz .LBB6_22
; %bb.20:                               ;   in Loop: Header=BB6_9 Depth=1
	v_div_scale_f64 v[0:1], s[8:9], v[6:7], v[6:7], v[4:5]
	v_rcp_f64_e32 v[2:3], v[0:1]
	v_div_scale_f64 v[20:21], vcc, v[4:5], v[6:7], v[4:5]
	v_fma_f64 v[22:23], -v[0:1], v[2:3], 1.0
	v_fmac_f64_e32 v[2:3], v[2:3], v[22:23]
	v_fma_f64 v[22:23], -v[0:1], v[2:3], 1.0
	v_fmac_f64_e32 v[2:3], v[2:3], v[22:23]
	v_mul_f64 v[22:23], v[20:21], v[2:3]
	v_fma_f64 v[0:1], -v[0:1], v[22:23], v[20:21]
	v_div_fmas_f64 v[0:1], v[0:1], v[2:3], v[22:23]
	v_div_fixup_f64 v[0:1], v[0:1], v[6:7], v[4:5]
	v_fma_f64 v[2:3], v[4:5], v[0:1], v[6:7]
	v_div_scale_f64 v[20:21], s[8:9], v[2:3], v[2:3], 1.0
	v_rcp_f64_e32 v[22:23], v[20:21]
	v_fma_f64 v[24:25], -v[20:21], v[22:23], 1.0
	v_fmac_f64_e32 v[22:23], v[22:23], v[24:25]
	v_fma_f64 v[24:25], -v[20:21], v[22:23], 1.0
	v_fmac_f64_e32 v[22:23], v[22:23], v[24:25]
	v_div_scale_f64 v[24:25], vcc, 1.0, v[2:3], 1.0
	v_mul_f64 v[34:35], v[24:25], v[22:23]
	v_fma_f64 v[20:21], -v[20:21], v[34:35], v[24:25]
	s_nop 1
	v_div_fmas_f64 v[20:21], v[20:21], v[22:23], v[34:35]
	v_div_fixup_f64 v[2:3], v[20:21], v[2:3], 1.0
	v_mul_f64 v[0:1], v[0:1], v[2:3]
	v_xor_b32_e32 v3, 0x80000000, v3
	s_cbranch_execz .LBB6_23
	s_branch .LBB6_24
.LBB6_21:                               ;   in Loop: Header=BB6_9 Depth=1
                                        ; implicit-def: $sgpr48_sgpr49
                                        ; implicit-def: $vgpr2_vgpr3
	s_branch .LBB6_25
.LBB6_22:                               ;   in Loop: Header=BB6_9 Depth=1
                                        ; implicit-def: $vgpr2_vgpr3
.LBB6_23:                               ;   in Loop: Header=BB6_9 Depth=1
	v_div_scale_f64 v[0:1], s[8:9], v[4:5], v[4:5], v[6:7]
	v_rcp_f64_e32 v[2:3], v[0:1]
	v_div_scale_f64 v[20:21], vcc, v[6:7], v[4:5], v[6:7]
	v_fma_f64 v[22:23], -v[0:1], v[2:3], 1.0
	v_fmac_f64_e32 v[2:3], v[2:3], v[22:23]
	v_fma_f64 v[22:23], -v[0:1], v[2:3], 1.0
	v_fmac_f64_e32 v[2:3], v[2:3], v[22:23]
	v_mul_f64 v[22:23], v[20:21], v[2:3]
	v_fma_f64 v[0:1], -v[0:1], v[22:23], v[20:21]
	v_div_fmas_f64 v[0:1], v[0:1], v[2:3], v[22:23]
	v_div_fixup_f64 v[2:3], v[0:1], v[4:5], v[6:7]
	v_fma_f64 v[0:1], v[6:7], v[2:3], v[4:5]
	v_div_scale_f64 v[20:21], s[8:9], v[0:1], v[0:1], 1.0
	v_rcp_f64_e32 v[22:23], v[20:21]
	v_fma_f64 v[24:25], -v[20:21], v[22:23], 1.0
	v_fmac_f64_e32 v[22:23], v[22:23], v[24:25]
	v_fma_f64 v[24:25], -v[20:21], v[22:23], 1.0
	v_fmac_f64_e32 v[22:23], v[22:23], v[24:25]
	v_div_scale_f64 v[24:25], vcc, 1.0, v[0:1], 1.0
	v_mul_f64 v[34:35], v[24:25], v[22:23]
	v_fma_f64 v[20:21], -v[20:21], v[34:35], v[24:25]
	s_nop 1
	v_div_fmas_f64 v[20:21], v[20:21], v[22:23], v[34:35]
	v_div_fixup_f64 v[0:1], v[20:21], v[0:1], 1.0
	v_mul_f64 v[2:3], v[2:3], -v[0:1]
.LBB6_24:                               ;   in Loop: Header=BB6_9 Depth=1
	s_cbranch_execnz .LBB6_26
.LBB6_25:                               ;   in Loop: Header=BB6_9 Depth=1
	s_add_u32 s8, s46, 1
	s_addc_u32 s9, s47, 0
	s_cmp_eq_u64 s[16:17], 0
	s_cselect_b32 s17, s9, s17
	s_cselect_b32 s16, s8, s16
	v_pk_mov_b32 v[0:1], v[4:5], v[4:5] op_sel:[0,1]
	v_pk_mov_b32 v[2:3], v[6:7], v[6:7] op_sel:[0,1]
	s_mov_b64 s[48:49], s[46:47]
.LBB6_26:                               ;   in Loop: Header=BB6_9 Depth=1
	s_and_saveexec_b64 s[8:9], s[2:3]
	s_cbranch_execz .LBB6_28
; %bb.27:                               ;   in Loop: Header=BB6_9 Depth=1
	s_lshl_b64 s[10:11], s[46:47], 3
	s_add_u32 s10, s57, s10
	s_addc_u32 s11, s58, s11
	s_add_u32 s50, s59, s48
	s_addc_u32 s51, s60, s49
	v_pk_mov_b32 v[4:5], s[50:51], s[50:51] op_sel:[0,1]
	global_store_dwordx2 v10, v[4:5], s[10:11]
.LBB6_28:                               ;   in Loop: Header=BB6_9 Depth=1
	s_or_b64 exec, exec, s[8:9]
	v_cmp_eq_u64_e32 vcc, s[48:49], v[8:9]
	v_cmp_ne_u64_e64 s[8:9], s[48:49], v[8:9]
	s_and_saveexec_b64 s[10:11], s[8:9]
	s_cbranch_execz .LBB6_32
; %bb.29:                               ;   in Loop: Header=BB6_9 Depth=1
	ds_read2_b64 v[20:23], v29 offset1:1
	v_cmp_le_u64_e64 s[8:9], s[46:47], v[8:9]
	s_and_b64 s[8:9], s[4:5], s[8:9]
	s_and_b64 s[8:9], s[0:1], s[8:9]
	s_waitcnt lgkmcnt(0)
	v_mul_f64 v[4:5], v[2:3], v[22:23]
	v_mul_f64 v[6:7], v[0:1], v[22:23]
	v_fma_f64 v[4:5], v[0:1], v[20:21], -v[4:5]
	v_fmac_f64_e32 v[6:7], v[2:3], v[20:21]
	s_and_saveexec_b64 s[50:51], s[8:9]
	s_cbranch_execz .LBB6_31
; %bb.30:                               ;   in Loop: Header=BB6_9 Depth=1
	s_mul_i32 s8, s46, s21
	s_mul_hi_u32 s9, s46, s20
	s_add_i32 s8, s9, s8
	s_mul_i32 s9, s47, s20
	s_add_i32 s9, s8, s9
	s_mul_i32 s8, s46, s20
	s_lshl_b64 s[8:9], s[8:9], 4
	v_mov_b32_e32 v1, s9
	v_add_co_u32_e64 v0, s[8:9], s8, v13
	v_addc_co_u32_e64 v1, s[8:9], v26, v1, s[8:9]
	global_store_dwordx4 v[0:1], v[4:7], off
.LBB6_31:                               ;   in Loop: Header=BB6_9 Depth=1
	s_or_b64 exec, exec, s[50:51]
	v_pk_mov_b32 v[0:1], v[4:5], v[4:5] op_sel:[0,1]
	v_pk_mov_b32 v[2:3], v[6:7], v[6:7] op_sel:[0,1]
.LBB6_32:                               ;   in Loop: Header=BB6_9 Depth=1
	s_or_b64 exec, exec, s[10:11]
	s_and_saveexec_b64 s[10:11], s[26:27]
	s_cbranch_execz .LBB6_35
; %bb.33:                               ;   in Loop: Header=BB6_9 Depth=1
	s_lshl_b64 s[8:9], s[48:49], 4
	v_mov_b32_e32 v5, s9
	v_add_co_u32_e64 v4, s[8:9], s8, v30
	v_addc_co_u32_e64 v5, s[8:9], v31, v5, s[8:9]
	global_load_dwordx4 v[4:7], v[4:5], off
	v_cmp_eq_u64_e64 s[8:9], s[46:47], v[8:9]
	s_waitcnt vmcnt(0)
	ds_write2_b64 v32, v[4:5], v[6:7] offset1:1
	s_and_b64 exec, exec, s[8:9]
	s_cbranch_execz .LBB6_35
; %bb.34:                               ;   in Loop: Header=BB6_9 Depth=1
	ds_write_b128 v10, v[0:3]
.LBB6_35:                               ;   in Loop: Header=BB6_9 Depth=1
	s_or_b64 exec, exec, s[10:11]
	s_cmp_lg_u64 s[48:49], s[46:47]
	s_cselect_b64 s[8:9], -1, 0
	s_and_b64 s[8:9], s[26:27], s[8:9]
	s_waitcnt lgkmcnt(0)
	s_barrier
	s_and_saveexec_b64 s[50:51], s[8:9]
	s_cbranch_execz .LBB6_43
; %bb.36:                               ;   in Loop: Header=BB6_9 Depth=1
	s_lshl_b64 s[8:9], s[46:47], 4
	v_mov_b32_e32 v4, s9
	v_add_co_u32_e64 v20, s[8:9], s8, v30
	v_addc_co_u32_e64 v21, s[8:9], v31, v4, s[8:9]
	v_mov_b32_e32 v4, s45
	v_cmp_ne_u64_e64 s[8:9], s[46:47], v[8:9]
	v_cndmask_b32_e64 v5, v4, v21, s[8:9]
	v_cndmask_b32_e64 v4, 0, v20, s[8:9]
	flat_load_dwordx4 v[4:7], v[4:5]
	v_pk_mov_b32 v[22:23], 0, 0
	v_cmp_lt_u64_e64 s[10:11], s[46:47], v[8:9]
	v_pk_mov_b32 v[24:25], v[22:23], v[22:23] op_sel:[0,1]
	s_and_saveexec_b64 s[52:53], s[10:11]
	s_cbranch_execz .LBB6_38
; %bb.37:                               ;   in Loop: Header=BB6_9 Depth=1
	ds_read2_b64 v[34:37], v32 offset1:1
	ds_read_b128 v[38:41], v10
	s_waitcnt lgkmcnt(0)
	v_mul_f64 v[24:25], v[36:37], v[40:41]
	v_mul_f64 v[22:23], v[34:35], v[40:41]
	v_fma_f64 v[24:25], v[34:35], v[38:39], -v[24:25]
	v_fmac_f64_e32 v[22:23], v[36:37], v[38:39]
.LBB6_38:                               ;   in Loop: Header=BB6_9 Depth=1
	s_or_b64 exec, exec, s[52:53]
	s_lshl_b64 s[10:11], s[48:49], 4
	v_mov_b32_e32 v11, s11
	v_add_co_u32_e64 v34, s[10:11], s10, v30
	s_waitcnt vmcnt(0) lgkmcnt(0)
	v_add_f64 v[4:5], v[4:5], -v[24:25]
	v_add_f64 v[6:7], v[6:7], -v[22:23]
	ds_read2_b64 v[22:25], v32 offset1:1
	v_addc_co_u32_e64 v35, s[10:11], v31, v11, s[10:11]
	s_add_u32 s10, s46, 1
	s_addc_u32 s11, s47, 0
	v_cmp_eq_u64_e64 s[10:11], s[10:11], v[8:9]
	global_store_dwordx4 v[34:35], v[4:7], off
	s_waitcnt lgkmcnt(0)
	global_store_dwordx4 v[20:21], v[22:25], off
	s_and_saveexec_b64 s[52:53], s[10:11]
	s_cbranch_execz .LBB6_40
; %bb.39:                               ;   in Loop: Header=BB6_9 Depth=1
	s_lshl_b32 s10, s48, 3
	s_add_i32 s19, s33, s10
	v_xor_b32_e32 v11, 0x80000000, v5
	v_cmp_gt_f64_e64 s[10:11], 0, v[4:5]
	v_cndmask_b32_e64 v17, v5, v11, s[10:11]
	v_cndmask_b32_e64 v16, v4, v4, s[10:11]
	v_xor_b32_e32 v11, 0x80000000, v7
	v_cmp_gt_f64_e64 s[10:11], 0, v[6:7]
	v_cndmask_b32_e64 v21, v7, v11, s[10:11]
	v_cndmask_b32_e64 v20, v6, v6, s[10:11]
	s_lshl_b32 s10, s48, 4
	s_add_i32 s10, s10, 16
	v_mov_b32_e32 v11, s10
	v_add_f64 v[16:17], v[20:21], v[16:17]
	ds_write2_b64 v11, v[4:5], v[6:7] offset1:1
	v_mov_b32_e32 v4, s19
	ds_write_b64 v4, v[16:17]
.LBB6_40:                               ;   in Loop: Header=BB6_9 Depth=1
	s_or_b64 exec, exec, s[52:53]
	s_or_b64 s[8:9], s[40:41], s[8:9]
	s_xor_b64 s[10:11], s[8:9], -1
	s_and_saveexec_b64 s[8:9], s[10:11]
	s_cbranch_execz .LBB6_42
; %bb.41:                               ;   in Loop: Header=BB6_9 Depth=1
	s_lshl_b64 s[10:11], s[48:49], 3
	s_add_u32 s10, s42, s10
	s_addc_u32 s11, s43, s11
	v_pk_mov_b32 v[4:5], s[10:11], s[10:11] op_sel:[0,1]
	flat_load_dwordx2 v[6:7], v[4:5]
	flat_load_dwordx2 v[20:21], v[14:15]
	s_waitcnt vmcnt(0) lgkmcnt(0)
	flat_store_dwordx2 v[14:15], v[6:7]
	flat_store_dwordx2 v[4:5], v[20:21]
.LBB6_42:                               ;   in Loop: Header=BB6_9 Depth=1
	s_or_b64 exec, exec, s[8:9]
.LBB6_43:                               ;   in Loop: Header=BB6_9 Depth=1
	s_or_b64 exec, exec, s[50:51]
	v_cmp_ge_u64_e64 s[8:9], s[46:47], v[8:9]
	s_or_b64 s[10:11], s[6:7], s[8:9]
	s_or_b64 s[10:11], s[10:11], vcc
	s_xor_b64 s[48:49], s[10:11], -1
	s_and_saveexec_b64 s[10:11], s[48:49]
	s_cbranch_execnz .LBB6_46
; %bb.44:                               ;   in Loop: Header=BB6_9 Depth=1
	s_or_b64 exec, exec, s[10:11]
	s_and_b64 s[10:11], s[0:1], s[8:9]
	s_and_saveexec_b64 s[8:9], s[10:11]
	s_cbranch_execnz .LBB6_52
.LBB6_45:                               ;   in Loop: Header=BB6_9 Depth=1
	s_or_b64 exec, exec, s[8:9]
	s_and_saveexec_b64 s[8:9], s[0:1]
	s_cbranch_execz .LBB6_8
	s_branch .LBB6_53
.LBB6_46:                               ;   in Loop: Header=BB6_9 Depth=1
	v_mov_b32_e32 v5, s47
	v_add_co_u32_e32 v4, vcc, s46, v12
	v_addc_co_u32_e32 v5, vcc, 0, v5, vcc
	v_cmp_gt_i64_e32 vcc, s[14:15], v[4:5]
	s_and_saveexec_b64 s[48:49], vcc
	s_cbranch_execz .LBB6_49
; %bb.47:                               ;   in Loop: Header=BB6_9 Depth=1
	s_mov_b64 s[50:51], 0
	v_mov_b32_e32 v11, v33
	v_pk_mov_b32 v[6:7], v[18:19], v[18:19] op_sel:[0,1]
.LBB6_48:                               ;   Parent Loop BB6_9 Depth=1
                                        ; =>  This Inner Loop Header: Depth=2
	global_load_dwordx4 v[20:23], v[6:7], off offset:-8
	ds_read2_b64 v[34:37], v11 offset1:1
	v_mov_b32_e32 v24, s56
	v_add_co_u32_e32 v4, vcc, s55, v4
	v_addc_co_u32_e32 v5, vcc, v5, v24, vcc
	s_waitcnt lgkmcnt(0)
	v_mul_f64 v[24:25], v[2:3], v[36:37]
	v_mul_f64 v[36:37], v[0:1], v[36:37]
	v_fma_f64 v[24:25], v[0:1], v[34:35], -v[24:25]
	v_fmac_f64_e32 v[36:37], v[2:3], v[34:35]
	v_cmp_le_i64_e32 vcc, s[14:15], v[4:5]
	v_mov_b32_e32 v38, s37
	s_or_b64 s[50:51], vcc, s[50:51]
	v_add_u32_e32 v11, s62, v11
	s_waitcnt vmcnt(0)
	v_add_f64 v[20:21], v[20:21], -v[24:25]
	v_add_f64 v[22:23], v[22:23], -v[36:37]
	global_store_dwordx4 v[6:7], v[20:23], off offset:-8
	v_add_co_u32_e32 v6, vcc, s36, v6
	v_addc_co_u32_e32 v7, vcc, v7, v38, vcc
	s_andn2_b64 exec, exec, s[50:51]
	s_cbranch_execnz .LBB6_48
.LBB6_49:                               ;   in Loop: Header=BB6_9 Depth=1
	s_or_b64 exec, exec, s[48:49]
	v_pk_mov_b32 v[4:5], s[12:13], s[12:13] op_sel:[0,1]
	v_cmp_lt_i64_e32 vcc, s[46:47], v[4:5]
	s_and_b64 s[50:51], s[0:1], vcc
	s_and_saveexec_b64 s[48:49], s[50:51]
	s_cbranch_execz .LBB6_51
; %bb.50:                               ;   in Loop: Header=BB6_9 Depth=1
	s_add_u32 s19, s46, 1
	s_addc_u32 s44, s47, 0
	s_mul_i32 s50, s19, s21
	s_mul_hi_u32 s51, s19, s20
	s_add_i32 s50, s51, s50
	s_mul_i32 s44, s44, s20
	s_add_i32 s51, s50, s44
	s_mul_i32 s50, s19, s20
	s_lshl_b64 s[50:51], s[50:51], 4
	v_mov_b32_e32 v4, s51
	v_add_co_u32_e32 v16, vcc, s50, v13
	v_addc_co_u32_e32 v17, vcc, v26, v4, vcc
	global_load_dwordx4 v[4:7], v[16:17], off
	s_lshl_b32 s19, s46, 4
	s_add_i32 s19, s61, s19
	v_mov_b32_e32 v11, s19
	ds_read2_b64 v[20:23], v11 offset1:1
	s_waitcnt lgkmcnt(0)
	v_mul_f64 v[24:25], v[2:3], v[22:23]
	v_mul_f64 v[22:23], v[0:1], v[22:23]
	v_fma_f64 v[0:1], v[0:1], v[20:21], -v[24:25]
	v_fmac_f64_e32 v[22:23], v[2:3], v[20:21]
	s_waitcnt vmcnt(0)
	v_add_f64 v[0:1], v[4:5], -v[0:1]
	v_add_f64 v[2:3], v[6:7], -v[22:23]
	v_xor_b32_e32 v4, 0x80000000, v1
	v_cmp_gt_f64_e32 vcc, 0, v[0:1]
	global_store_dwordx4 v[16:17], v[0:3], off
	ds_write2_b64 v29, v[0:1], v[2:3] offset1:1
	v_xor_b32_e32 v5, 0x80000000, v3
	v_cndmask_b32_e32 v1, v1, v4, vcc
	v_cndmask_b32_e32 v0, v0, v0, vcc
	v_cmp_gt_f64_e32 vcc, 0, v[2:3]
	v_cndmask_b32_e32 v3, v3, v5, vcc
	v_cndmask_b32_e32 v2, v2, v2, vcc
	v_add_f64 v[16:17], v[0:1], v[2:3]
	ds_write_b64 v27, v[16:17]
.LBB6_51:                               ;   in Loop: Header=BB6_9 Depth=1
	s_or_b64 exec, exec, s[48:49]
	s_or_b64 exec, exec, s[10:11]
	s_and_b64 s[10:11], s[0:1], s[8:9]
	s_and_saveexec_b64 s[8:9], s[10:11]
	s_cbranch_execz .LBB6_45
.LBB6_52:                               ;   in Loop: Header=BB6_9 Depth=1
	s_mov_b32 s19, s18
	s_mov_b32 s10, s18
	;; [unrolled: 1-line block ×3, first 2 shown]
	v_pk_mov_b32 v[0:1], s[18:19], s[18:19] op_sel:[0,1]
	v_pk_mov_b32 v[2:3], s[10:11], s[10:11] op_sel:[0,1]
	v_mov_b32_e32 v11, v10
	v_pk_mov_b32 v[16:17], 0, 0
	ds_write2_b64 v29, v[0:1], v[2:3] offset1:1
	ds_write_b64 v27, v[10:11]
	s_or_b64 exec, exec, s[8:9]
	s_and_saveexec_b64 s[8:9], s[0:1]
	s_cbranch_execz .LBB6_8
.LBB6_53:                               ;   in Loop: Header=BB6_9 Depth=1
	ds_write_b64 v28, v[8:9]
	s_branch .LBB6_8
.LBB6_54:
	s_mov_b64 s[16:17], 0
.LBB6_55:
	v_cmp_eq_u32_e32 vcc, 0, v8
	s_and_saveexec_b64 s[2:3], vcc
	s_cbranch_execz .LBB6_58
; %bb.56:
	s_lshl_b64 s[2:3], s[34:35], 3
	s_waitcnt lgkmcnt(0)
	s_add_u32 s2, s38, s2
	s_addc_u32 s3, s39, s3
	v_mov_b32_e32 v0, 0
	global_load_dwordx2 v[2:3], v0, s[2:3]
	v_cmp_gt_i64_e64 s[6:7], s[16:17], 0
	s_waitcnt vmcnt(0)
	v_readfirstlane_b32 s4, v2
	v_readfirstlane_b32 s5, v3
	s_cmp_eq_u64 s[4:5], 0
	s_cselect_b64 s[4:5], -1, 0
	s_and_b64 s[4:5], s[4:5], s[6:7]
	s_and_b64 s[0:1], s[0:1], s[4:5]
	s_and_b64 exec, exec, s[0:1]
	s_cbranch_execz .LBB6_58
; %bb.57:
	s_add_u32 s0, s16, s28
	s_addc_u32 s1, s17, s29
	v_pk_mov_b32 v[2:3], s[0:1], s[0:1] op_sel:[0,1]
	global_store_dwordx2 v0, v[2:3], s[2:3]
.LBB6_58:
	s_endpgm
	.section	.rodata,"a",@progbits
	.p2align	6, 0x0
	.amdhsa_kernel _ZN9rocsolver6v33100L18getf2_panel_kernelI19rocblas_complex_numIdEllPS3_EEvT0_S5_T2_lS5_lPS5_llPT1_S5_S5_S7_l
		.amdhsa_group_segment_fixed_size 16
		.amdhsa_private_segment_fixed_size 0
		.amdhsa_kernarg_size 368
		.amdhsa_user_sgpr_count 6
		.amdhsa_user_sgpr_private_segment_buffer 1
		.amdhsa_user_sgpr_dispatch_ptr 0
		.amdhsa_user_sgpr_queue_ptr 0
		.amdhsa_user_sgpr_kernarg_segment_ptr 1
		.amdhsa_user_sgpr_dispatch_id 0
		.amdhsa_user_sgpr_flat_scratch_init 0
		.amdhsa_user_sgpr_kernarg_preload_length 0
		.amdhsa_user_sgpr_kernarg_preload_offset 0
		.amdhsa_user_sgpr_private_segment_size 0
		.amdhsa_uses_dynamic_stack 0
		.amdhsa_system_sgpr_private_segment_wavefront_offset 0
		.amdhsa_system_sgpr_workgroup_id_x 1
		.amdhsa_system_sgpr_workgroup_id_y 0
		.amdhsa_system_sgpr_workgroup_id_z 1
		.amdhsa_system_sgpr_workgroup_info 0
		.amdhsa_system_vgpr_workitem_id 1
		.amdhsa_next_free_vgpr 42
		.amdhsa_next_free_sgpr 63
		.amdhsa_accum_offset 44
		.amdhsa_reserve_vcc 1
		.amdhsa_reserve_flat_scratch 0
		.amdhsa_float_round_mode_32 0
		.amdhsa_float_round_mode_16_64 0
		.amdhsa_float_denorm_mode_32 3
		.amdhsa_float_denorm_mode_16_64 3
		.amdhsa_dx10_clamp 1
		.amdhsa_ieee_mode 1
		.amdhsa_fp16_overflow 0
		.amdhsa_tg_split 0
		.amdhsa_exception_fp_ieee_invalid_op 0
		.amdhsa_exception_fp_denorm_src 0
		.amdhsa_exception_fp_ieee_div_zero 0
		.amdhsa_exception_fp_ieee_overflow 0
		.amdhsa_exception_fp_ieee_underflow 0
		.amdhsa_exception_fp_ieee_inexact 0
		.amdhsa_exception_int_div_zero 0
	.end_amdhsa_kernel
	.section	.text._ZN9rocsolver6v33100L18getf2_panel_kernelI19rocblas_complex_numIdEllPS3_EEvT0_S5_T2_lS5_lPS5_llPT1_S5_S5_S7_l,"axG",@progbits,_ZN9rocsolver6v33100L18getf2_panel_kernelI19rocblas_complex_numIdEllPS3_EEvT0_S5_T2_lS5_lPS5_llPT1_S5_S5_S7_l,comdat
.Lfunc_end6:
	.size	_ZN9rocsolver6v33100L18getf2_panel_kernelI19rocblas_complex_numIdEllPS3_EEvT0_S5_T2_lS5_lPS5_llPT1_S5_S5_S7_l, .Lfunc_end6-_ZN9rocsolver6v33100L18getf2_panel_kernelI19rocblas_complex_numIdEllPS3_EEvT0_S5_T2_lS5_lPS5_llPT1_S5_S5_S7_l
                                        ; -- End function
	.section	.AMDGPU.csdata,"",@progbits
; Kernel info:
; codeLenInByte = 2948
; NumSgprs: 67
; NumVgprs: 42
; NumAgprs: 0
; TotalNumVgprs: 42
; ScratchSize: 0
; MemoryBound: 1
; FloatMode: 240
; IeeeMode: 1
; LDSByteSize: 16 bytes/workgroup (compile time only)
; SGPRBlocks: 8
; VGPRBlocks: 5
; NumSGPRsForWavesPerEU: 67
; NumVGPRsForWavesPerEU: 42
; AccumOffset: 44
; Occupancy: 8
; WaveLimiterHint : 0
; COMPUTE_PGM_RSRC2:SCRATCH_EN: 0
; COMPUTE_PGM_RSRC2:USER_SGPR: 6
; COMPUTE_PGM_RSRC2:TRAP_HANDLER: 0
; COMPUTE_PGM_RSRC2:TGID_X_EN: 1
; COMPUTE_PGM_RSRC2:TGID_Y_EN: 0
; COMPUTE_PGM_RSRC2:TGID_Z_EN: 1
; COMPUTE_PGM_RSRC2:TIDIG_COMP_CNT: 1
; COMPUTE_PGM_RSRC3_GFX90A:ACCUM_OFFSET: 10
; COMPUTE_PGM_RSRC3_GFX90A:TG_SPLIT: 0
	.section	.text._ZN9rocsolver6v33100L23getf2_npvt_panel_kernelI19rocblas_complex_numIdEllPS3_EEvT0_S5_T2_lS5_lPT1_S5_S5_,"axG",@progbits,_ZN9rocsolver6v33100L23getf2_npvt_panel_kernelI19rocblas_complex_numIdEllPS3_EEvT0_S5_T2_lS5_lPT1_S5_S5_,comdat
	.globl	_ZN9rocsolver6v33100L23getf2_npvt_panel_kernelI19rocblas_complex_numIdEllPS3_EEvT0_S5_T2_lS5_lPT1_S5_S5_ ; -- Begin function _ZN9rocsolver6v33100L23getf2_npvt_panel_kernelI19rocblas_complex_numIdEllPS3_EEvT0_S5_T2_lS5_lPT1_S5_S5_
	.p2align	8
	.type	_ZN9rocsolver6v33100L23getf2_npvt_panel_kernelI19rocblas_complex_numIdEllPS3_EEvT0_S5_T2_lS5_lPT1_S5_S5_,@function
_ZN9rocsolver6v33100L23getf2_npvt_panel_kernelI19rocblas_complex_numIdEllPS3_EEvT0_S5_T2_lS5_lPT1_S5_S5_: ; @_ZN9rocsolver6v33100L23getf2_npvt_panel_kernelI19rocblas_complex_numIdEllPS3_EEvT0_S5_T2_lS5_lPT1_S5_S5_
; %bb.0:
	s_load_dwordx8 s[16:23], s[4:5], 0x0
	s_load_dwordx8 s[8:15], s[4:5], 0x20
	s_mov_b32 s24, s7
	s_waitcnt lgkmcnt(0)
	s_load_dword s14, s[4:5], 0x54
	v_bfe_u32 v10, v0, 10, 10
	s_mov_b32 s25, 0
	s_mul_i32 s0, s7, s11
	s_mul_hi_u32 s1, s7, s10
	s_add_i32 s1, s1, s0
	s_mul_i32 s0, s7, s10
	s_lshl_b64 s[6:7], s[0:1], 4
	s_add_u32 s0, s20, s6
	s_addc_u32 s1, s21, s7
	s_lshl_b64 s[26:27], s[22:23], 4
	s_add_u32 s22, s0, s26
	v_and_b32_e32 v4, 0x3ff, v0
	v_mov_b32_e32 v5, 0
	s_addc_u32 s23, s1, s27
	v_cmp_eq_u32_e64 s[0:1], 0, v10
	s_and_saveexec_b64 s[2:3], s[0:1]
	s_cbranch_execz .LBB7_4
; %bb.1:
	v_pk_mov_b32 v[0:1], 0, 0
	v_cmp_gt_i64_e32 vcc, s[16:17], v[4:5]
	v_pk_mov_b32 v[2:3], v[0:1], v[0:1] op_sel:[0,1]
	s_and_saveexec_b64 s[10:11], vcc
	s_cbranch_execz .LBB7_3
; %bb.2:
	v_lshlrev_b32_e32 v0, 4, v4
	global_load_dwordx4 v[0:3], v0, s[22:23]
.LBB7_3:
	s_or_b64 exec, exec, s[10:11]
	v_lshl_add_u32 v6, v4, 4, 0
	s_waitcnt vmcnt(0)
	ds_write2_b64 v6, v[0:1], v[2:3] offset1:1
.LBB7_4:
	s_or_b64 exec, exec, s[2:3]
	v_cmp_lt_i64_e64 s[2:3], s[18:19], 1
	s_and_b64 vcc, exec, s[2:3]
	s_cbranch_vccnz .LBB7_29
; %bb.5:
	v_lshlrev_b32_e32 v8, 4, v4
	s_waitcnt lgkmcnt(0)
	s_and_b32 s2, s14, 0xffff
	v_mov_b32_e32 v0, s23
	v_add_co_u32_e32 v7, vcc, s22, v8
	s_lshl_b32 s2, s2, 4
	v_addc_co_u32_e32 v14, vcc, 0, v0, vcc
	s_add_i32 s11, s2, 0
	v_cmp_gt_i64_e64 s[2:3], s[16:17], v[4:5]
	v_mad_u64_u32 v[0:1], s[16:17], v4, s8, 0
	v_mov_b32_e32 v2, v1
	v_mad_u64_u32 v[2:3], s[16:17], v4, s9, v[2:3]
	v_mov_b32_e32 v1, v2
	v_cmp_gt_u64_e32 vcc, s[18:19], v[4:5]
	v_lshlrev_b64 v[0:1], 4, v[0:1]
	s_lshr_b32 s33, s14, 16
	s_and_b64 s[14:15], s[0:1], vcc
	v_mov_b32_e32 v2, s23
	v_add_co_u32_e32 v16, vcc, s22, v0
	v_add_u32_e32 v6, 2, v10
	v_addc_co_u32_e32 v17, vcc, v2, v1, vcc
	v_mad_u64_u32 v[0:1], s[16:17], s8, v6, 0
	s_add_u32 s22, s18, -1
	v_mov_b32_e32 v2, v1
	s_addc_u32 s23, s19, -1
	s_add_i32 s37, s11, 16
	v_mad_u64_u32 v[2:3], s[16:17], s9, v6, v[2:3]
	v_mov_b32_e32 v1, v2
	s_add_u32 s6, s26, s6
	v_lshlrev_b64 v[0:1], 4, v[0:1]
	s_addc_u32 s7, s27, s7
	v_mov_b32_e32 v2, s7
	v_add_co_u32_e32 v0, vcc, s6, v0
	v_addc_co_u32_e32 v1, vcc, v2, v1, vcc
	v_add_co_u32_e32 v0, vcc, v0, v8
	v_addc_co_u32_e32 v1, vcc, 0, v1, vcc
	v_mov_b32_e32 v2, s21
	v_add_co_u32_e32 v0, vcc, s20, v0
	v_addc_co_u32_e32 v1, vcc, v1, v2, vcc
	s_mul_i32 s6, s9, s33
	s_mul_hi_u32 s7, s8, s33
	s_mov_b32 s10, 0
	v_add_u32_e32 v15, 0, v8
	v_add_u32_e32 v18, s11, v8
	v_add_co_u32_e32 v8, vcc, 8, v0
	s_add_i32 s7, s7, s6
	s_mul_i32 s6, s8, s33
	v_lshlrev_b32_e32 v0, 4, v10
	s_mov_b32 s36, s10
	v_addc_co_u32_e32 v9, vcc, 0, v1, vcc
	s_lshl_b64 s[20:21], s[8:9], 4
	s_lshl_b64 s[26:27], s[6:7], 4
	v_add3_u32 v19, s11, v0, 32
	s_lshl_b32 s38, s33, 4
	s_mov_b64 s[16:17], 0
	s_mov_b64 s[28:29], 0
	s_branch .LBB7_7
.LBB7_6:                                ;   in Loop: Header=BB7_7 Depth=1
	s_or_b64 exec, exec, s[6:7]
	s_add_u32 s28, s28, 1
	s_addc_u32 s29, s29, 0
	v_mov_b32_e32 v0, s21
	v_add_co_u32_e32 v8, vcc, s20, v8
	v_addc_co_u32_e32 v9, vcc, v9, v0, vcc
	s_cmp_eq_u64 s[28:29], s[18:19]
	v_add_u32_e32 v19, 16, v19
	s_cbranch_scc1 .LBB7_30
.LBB7_7:                                ; =>This Loop Header: Depth=1
                                        ;     Child Loop BB7_21 Depth 2
	s_lshl_b32 s11, s28, 4
	s_add_i32 s6, s11, 0
	v_mov_b32_e32 v0, s6
	s_barrier
	ds_read2_b64 v[0:3], v0 offset1:1
	s_waitcnt lgkmcnt(0)
	v_cmp_eq_f64_e32 vcc, 0, v[0:1]
	v_cmp_eq_f64_e64 s[6:7], 0, v[2:3]
	s_and_b64 s[6:7], vcc, s[6:7]
	s_cmp_eq_u64 s[16:17], 0
	s_cselect_b64 s[30:31], -1, 0
	s_and_b64 s[6:7], s[6:7], s[30:31]
	s_andn2_b64 vcc, exec, s[6:7]
	s_cbranch_vccz .LBB7_10
; %bb.8:                                ;   in Loop: Header=BB7_7 Depth=1
	v_xor_b32_e32 v10, 0x80000000, v1
	v_cmp_gt_f64_e32 vcc, 0, v[0:1]
	v_cndmask_b32_e32 v11, v1, v10, vcc
	v_xor_b32_e32 v12, 0x80000000, v3
	v_cmp_gt_f64_e32 vcc, 0, v[2:3]
	v_mov_b32_e32 v10, v0
	v_cndmask_b32_e32 v13, v3, v12, vcc
	v_mov_b32_e32 v12, v2
	v_cmp_ngt_f64_e32 vcc, v[10:11], v[12:13]
	s_cbranch_vccz .LBB7_11
; %bb.9:                                ;   in Loop: Header=BB7_7 Depth=1
	v_div_scale_f64 v[10:11], s[6:7], v[2:3], v[2:3], v[0:1]
	v_rcp_f64_e32 v[12:13], v[10:11]
	v_div_scale_f64 v[20:21], vcc, v[0:1], v[2:3], v[0:1]
	v_fma_f64 v[22:23], -v[10:11], v[12:13], 1.0
	v_fmac_f64_e32 v[12:13], v[12:13], v[22:23]
	v_fma_f64 v[22:23], -v[10:11], v[12:13], 1.0
	v_fmac_f64_e32 v[12:13], v[12:13], v[22:23]
	v_mul_f64 v[22:23], v[20:21], v[12:13]
	v_fma_f64 v[10:11], -v[10:11], v[22:23], v[20:21]
	v_div_fmas_f64 v[10:11], v[10:11], v[12:13], v[22:23]
	v_div_fixup_f64 v[12:13], v[10:11], v[2:3], v[0:1]
	v_fma_f64 v[10:11], v[0:1], v[12:13], v[2:3]
	v_div_scale_f64 v[20:21], s[6:7], v[10:11], v[10:11], 1.0
	v_rcp_f64_e32 v[22:23], v[20:21]
	v_fma_f64 v[24:25], -v[20:21], v[22:23], 1.0
	v_fmac_f64_e32 v[22:23], v[22:23], v[24:25]
	v_fma_f64 v[24:25], -v[20:21], v[22:23], 1.0
	v_fmac_f64_e32 v[22:23], v[22:23], v[24:25]
	v_div_scale_f64 v[24:25], vcc, 1.0, v[10:11], 1.0
	v_mul_f64 v[26:27], v[24:25], v[22:23]
	v_fma_f64 v[20:21], -v[20:21], v[26:27], v[24:25]
	s_nop 1
	v_div_fmas_f64 v[20:21], v[20:21], v[22:23], v[26:27]
	v_div_fixup_f64 v[10:11], v[20:21], v[10:11], 1.0
	v_mul_f64 v[12:13], v[12:13], v[10:11]
	v_xor_b32_e32 v11, 0x80000000, v11
	s_cbranch_execz .LBB7_12
	s_branch .LBB7_13
.LBB7_10:                               ;   in Loop: Header=BB7_7 Depth=1
                                        ; implicit-def: $sgpr16_sgpr17
                                        ; implicit-def: $vgpr10_vgpr11
                                        ; implicit-def: $vgpr12_vgpr13
	s_branch .LBB7_14
.LBB7_11:                               ;   in Loop: Header=BB7_7 Depth=1
                                        ; implicit-def: $vgpr10_vgpr11
                                        ; implicit-def: $vgpr12_vgpr13
.LBB7_12:                               ;   in Loop: Header=BB7_7 Depth=1
	v_div_scale_f64 v[10:11], s[6:7], v[0:1], v[0:1], v[2:3]
	v_rcp_f64_e32 v[12:13], v[10:11]
	v_div_scale_f64 v[20:21], vcc, v[2:3], v[0:1], v[2:3]
	v_fma_f64 v[22:23], -v[10:11], v[12:13], 1.0
	v_fmac_f64_e32 v[12:13], v[12:13], v[22:23]
	v_fma_f64 v[22:23], -v[10:11], v[12:13], 1.0
	v_fmac_f64_e32 v[12:13], v[12:13], v[22:23]
	v_mul_f64 v[22:23], v[20:21], v[12:13]
	v_fma_f64 v[10:11], -v[10:11], v[22:23], v[20:21]
	v_div_fmas_f64 v[10:11], v[10:11], v[12:13], v[22:23]
	v_div_fixup_f64 v[10:11], v[10:11], v[0:1], v[2:3]
	v_fma_f64 v[12:13], v[2:3], v[10:11], v[0:1]
	v_div_scale_f64 v[20:21], s[6:7], v[12:13], v[12:13], 1.0
	v_rcp_f64_e32 v[22:23], v[20:21]
	v_fma_f64 v[24:25], -v[20:21], v[22:23], 1.0
	v_fmac_f64_e32 v[22:23], v[22:23], v[24:25]
	v_fma_f64 v[24:25], -v[20:21], v[22:23], 1.0
	v_fmac_f64_e32 v[22:23], v[22:23], v[24:25]
	v_div_scale_f64 v[24:25], vcc, 1.0, v[12:13], 1.0
	v_mul_f64 v[26:27], v[24:25], v[22:23]
	v_fma_f64 v[20:21], -v[20:21], v[26:27], v[24:25]
	s_nop 1
	v_div_fmas_f64 v[20:21], v[20:21], v[22:23], v[26:27]
	v_div_fixup_f64 v[12:13], v[20:21], v[12:13], 1.0
	v_mul_f64 v[10:11], v[10:11], -v[12:13]
.LBB7_13:                               ;   in Loop: Header=BB7_7 Depth=1
	s_cbranch_execnz .LBB7_15
.LBB7_14:                               ;   in Loop: Header=BB7_7 Depth=1
	s_add_u32 s16, s28, 1
	s_addc_u32 s17, s29, 0
	v_pk_mov_b32 v[12:13], v[0:1], v[0:1] op_sel:[0,1]
	v_pk_mov_b32 v[10:11], v[2:3], v[2:3] op_sel:[0,1]
.LBB7_15:                               ;   in Loop: Header=BB7_7 Depth=1
	v_cmp_ne_u64_e32 vcc, s[28:29], v[4:5]
	s_and_saveexec_b64 s[6:7], vcc
	s_cbranch_execnz .LBB7_26
; %bb.16:                               ;   in Loop: Header=BB7_7 Depth=1
	s_or_b64 exec, exec, s[6:7]
	s_and_saveexec_b64 s[6:7], s[14:15]
	s_cbranch_execz .LBB7_18
.LBB7_17:                               ;   in Loop: Header=BB7_7 Depth=1
	s_lshl_b64 s[30:31], s[28:29], 4
	v_mov_b32_e32 v1, s31
	v_add_co_u32_e32 v0, vcc, s30, v16
	v_addc_co_u32_e32 v1, vcc, v17, v1, vcc
	global_load_dwordx4 v[0:3], v[0:1], off
	s_waitcnt vmcnt(0)
	ds_write2_b64 v18, v[0:1], v[2:3] offset1:1
.LBB7_18:                               ;   in Loop: Header=BB7_7 Depth=1
	s_or_b64 exec, exec, s[6:7]
	v_cmp_lt_u64_e32 vcc, s[28:29], v[4:5]
	s_and_b64 s[30:31], s[2:3], vcc
	s_waitcnt lgkmcnt(0)
	s_barrier
	s_and_saveexec_b64 s[6:7], s[30:31]
	s_cbranch_execz .LBB7_24
; %bb.19:                               ;   in Loop: Header=BB7_7 Depth=1
	v_mov_b32_e32 v1, s29
	v_add_co_u32_e32 v0, vcc, s28, v6
	v_addc_co_u32_e32 v1, vcc, 0, v1, vcc
	v_cmp_gt_i64_e32 vcc, s[18:19], v[0:1]
	s_and_saveexec_b64 s[30:31], vcc
	s_cbranch_execz .LBB7_22
; %bb.20:                               ;   in Loop: Header=BB7_7 Depth=1
	s_mov_b64 s[34:35], 0
	v_mov_b32_e32 v20, v19
	v_pk_mov_b32 v[2:3], v[8:9], v[8:9] op_sel:[0,1]
.LBB7_21:                               ;   Parent Loop BB7_7 Depth=1
                                        ; =>  This Inner Loop Header: Depth=2
	global_load_dwordx4 v[22:25], v[2:3], off offset:-8
	ds_read2_b64 v[26:29], v20 offset1:1
	v_mov_b32_e32 v21, s36
	v_add_co_u32_e32 v0, vcc, s33, v0
	v_addc_co_u32_e32 v1, vcc, v1, v21, vcc
	s_waitcnt lgkmcnt(0)
	v_mul_f64 v[30:31], v[10:11], v[28:29]
	v_mul_f64 v[28:29], v[12:13], v[28:29]
	v_fma_f64 v[30:31], v[12:13], v[26:27], -v[30:31]
	v_fmac_f64_e32 v[28:29], v[10:11], v[26:27]
	v_cmp_le_i64_e32 vcc, s[18:19], v[0:1]
	v_mov_b32_e32 v32, s27
	s_or_b64 s[34:35], vcc, s[34:35]
	v_add_u32_e32 v20, s38, v20
	s_waitcnt vmcnt(0)
	v_add_f64 v[22:23], v[22:23], -v[30:31]
	v_add_f64 v[24:25], v[24:25], -v[28:29]
	global_store_dwordx4 v[2:3], v[22:25], off offset:-8
	v_add_co_u32_e32 v2, vcc, s26, v2
	v_addc_co_u32_e32 v3, vcc, v3, v32, vcc
	s_andn2_b64 exec, exec, s[34:35]
	s_cbranch_execnz .LBB7_21
.LBB7_22:                               ;   in Loop: Header=BB7_7 Depth=1
	s_or_b64 exec, exec, s[30:31]
	v_pk_mov_b32 v[0:1], s[22:23], s[22:23] op_sel:[0,1]
	v_cmp_lt_i64_e32 vcc, s[28:29], v[0:1]
	s_and_b64 s[30:31], s[0:1], vcc
	s_and_b64 exec, exec, s[30:31]
	s_cbranch_execz .LBB7_24
; %bb.23:                               ;   in Loop: Header=BB7_7 Depth=1
	s_add_u32 s30, s28, 1
	s_addc_u32 s31, s29, 0
	s_mul_i32 s34, s30, s9
	s_mul_hi_u32 s35, s30, s8
	s_add_i32 s34, s35, s34
	s_mul_i32 s31, s31, s8
	s_add_i32 s31, s34, s31
	s_mul_i32 s30, s30, s8
	s_lshl_b64 s[30:31], s[30:31], 4
	v_mov_b32_e32 v0, s31
	v_add_co_u32_e32 v24, vcc, s30, v7
	v_addc_co_u32_e32 v25, vcc, v14, v0, vcc
	global_load_dwordx4 v[0:3], v[24:25], off
	s_add_i32 s11, s37, s11
	v_mov_b32_e32 v20, s11
	ds_read2_b64 v[20:23], v20 offset1:1
	s_waitcnt lgkmcnt(0)
	v_mul_f64 v[26:27], v[10:11], v[22:23]
	v_mul_f64 v[22:23], v[12:13], v[22:23]
	v_fma_f64 v[12:13], v[12:13], v[20:21], -v[26:27]
	v_fmac_f64_e32 v[22:23], v[10:11], v[20:21]
	s_waitcnt vmcnt(0)
	v_add_f64 v[0:1], v[0:1], -v[12:13]
	v_add_f64 v[2:3], v[2:3], -v[22:23]
	global_store_dwordx4 v[24:25], v[0:3], off
	ds_write2_b64 v15, v[0:1], v[2:3] offset1:1
.LBB7_24:                               ;   in Loop: Header=BB7_7 Depth=1
	s_or_b64 exec, exec, s[6:7]
	v_cmp_ge_u64_e32 vcc, s[28:29], v[4:5]
	s_and_b64 s[30:31], s[0:1], vcc
	s_and_saveexec_b64 s[6:7], s[30:31]
	s_cbranch_execz .LBB7_6
; %bb.25:                               ;   in Loop: Header=BB7_7 Depth=1
	s_mov_b32 s11, s10
	s_mov_b32 s30, s10
	;; [unrolled: 1-line block ×3, first 2 shown]
	v_pk_mov_b32 v[0:1], s[10:11], s[10:11] op_sel:[0,1]
	v_pk_mov_b32 v[2:3], s[30:31], s[30:31] op_sel:[0,1]
	ds_write2_b64 v15, v[0:1], v[2:3] offset1:1
	s_branch .LBB7_6
.LBB7_26:                               ;   in Loop: Header=BB7_7 Depth=1
	ds_read2_b64 v[20:23], v15 offset1:1
	v_cmp_le_u64_e32 vcc, s[28:29], v[4:5]
	s_and_b64 s[30:31], s[2:3], vcc
	s_and_b64 s[34:35], s[0:1], s[30:31]
	s_waitcnt lgkmcnt(0)
	v_mul_f64 v[0:1], v[10:11], v[22:23]
	v_mul_f64 v[2:3], v[12:13], v[22:23]
	v_fma_f64 v[0:1], v[12:13], v[20:21], -v[0:1]
	v_fmac_f64_e32 v[2:3], v[10:11], v[20:21]
	s_and_saveexec_b64 s[30:31], s[34:35]
	s_cbranch_execz .LBB7_28
; %bb.27:                               ;   in Loop: Header=BB7_7 Depth=1
	s_mul_i32 s34, s28, s9
	s_mul_hi_u32 s35, s28, s8
	s_add_i32 s34, s35, s34
	s_mul_i32 s35, s29, s8
	s_add_i32 s35, s34, s35
	s_mul_i32 s34, s28, s8
	s_lshl_b64 s[34:35], s[34:35], 4
	v_mov_b32_e32 v11, s35
	v_add_co_u32_e32 v10, vcc, s34, v7
	v_addc_co_u32_e32 v11, vcc, v14, v11, vcc
	global_store_dwordx4 v[10:11], v[0:3], off
.LBB7_28:                               ;   in Loop: Header=BB7_7 Depth=1
	s_or_b64 exec, exec, s[30:31]
	v_pk_mov_b32 v[12:13], v[0:1], v[0:1] op_sel:[0,1]
	v_pk_mov_b32 v[10:11], v[2:3], v[2:3] op_sel:[0,1]
	s_or_b64 exec, exec, s[6:7]
	s_and_saveexec_b64 s[6:7], s[14:15]
	s_cbranch_execnz .LBB7_17
	s_branch .LBB7_18
.LBB7_29:
	s_mov_b64 s[16:17], 0
.LBB7_30:
	v_cmp_eq_u32_e32 vcc, 0, v4
	s_and_saveexec_b64 s[2:3], vcc
	s_cbranch_execz .LBB7_33
; %bb.31:
	s_lshl_b64 s[2:3], s[24:25], 3
	s_add_u32 s2, s12, s2
	s_addc_u32 s3, s13, s3
	v_mov_b32_e32 v0, 0
	global_load_dwordx2 v[2:3], v0, s[2:3]
	v_cmp_gt_i64_e64 s[8:9], s[16:17], 0
	s_waitcnt vmcnt(0)
	v_readfirstlane_b32 s6, v2
	v_readfirstlane_b32 s7, v3
	s_cmp_eq_u64 s[6:7], 0
	s_cselect_b64 s[6:7], -1, 0
	s_and_b64 s[6:7], s[6:7], s[8:9]
	s_and_b64 s[0:1], s[0:1], s[6:7]
	s_and_b64 exec, exec, s[0:1]
	s_cbranch_execz .LBB7_33
; %bb.32:
	s_load_dwordx2 s[0:1], s[4:5], 0x40
	s_waitcnt lgkmcnt(0)
	s_add_u32 s0, s16, s0
	s_addc_u32 s1, s17, s1
	v_pk_mov_b32 v[2:3], s[0:1], s[0:1] op_sel:[0,1]
	global_store_dwordx2 v0, v[2:3], s[2:3]
.LBB7_33:
	s_endpgm
	.section	.rodata,"a",@progbits
	.p2align	6, 0x0
	.amdhsa_kernel _ZN9rocsolver6v33100L23getf2_npvt_panel_kernelI19rocblas_complex_numIdEllPS3_EEvT0_S5_T2_lS5_lPT1_S5_S5_
		.amdhsa_group_segment_fixed_size 0
		.amdhsa_private_segment_fixed_size 0
		.amdhsa_kernarg_size 328
		.amdhsa_user_sgpr_count 6
		.amdhsa_user_sgpr_private_segment_buffer 1
		.amdhsa_user_sgpr_dispatch_ptr 0
		.amdhsa_user_sgpr_queue_ptr 0
		.amdhsa_user_sgpr_kernarg_segment_ptr 1
		.amdhsa_user_sgpr_dispatch_id 0
		.amdhsa_user_sgpr_flat_scratch_init 0
		.amdhsa_user_sgpr_kernarg_preload_length 0
		.amdhsa_user_sgpr_kernarg_preload_offset 0
		.amdhsa_user_sgpr_private_segment_size 0
		.amdhsa_uses_dynamic_stack 0
		.amdhsa_system_sgpr_private_segment_wavefront_offset 0
		.amdhsa_system_sgpr_workgroup_id_x 1
		.amdhsa_system_sgpr_workgroup_id_y 0
		.amdhsa_system_sgpr_workgroup_id_z 1
		.amdhsa_system_sgpr_workgroup_info 0
		.amdhsa_system_vgpr_workitem_id 1
		.amdhsa_next_free_vgpr 33
		.amdhsa_next_free_sgpr 39
		.amdhsa_accum_offset 36
		.amdhsa_reserve_vcc 1
		.amdhsa_reserve_flat_scratch 0
		.amdhsa_float_round_mode_32 0
		.amdhsa_float_round_mode_16_64 0
		.amdhsa_float_denorm_mode_32 3
		.amdhsa_float_denorm_mode_16_64 3
		.amdhsa_dx10_clamp 1
		.amdhsa_ieee_mode 1
		.amdhsa_fp16_overflow 0
		.amdhsa_tg_split 0
		.amdhsa_exception_fp_ieee_invalid_op 0
		.amdhsa_exception_fp_denorm_src 0
		.amdhsa_exception_fp_ieee_div_zero 0
		.amdhsa_exception_fp_ieee_overflow 0
		.amdhsa_exception_fp_ieee_underflow 0
		.amdhsa_exception_fp_ieee_inexact 0
		.amdhsa_exception_int_div_zero 0
	.end_amdhsa_kernel
	.section	.text._ZN9rocsolver6v33100L23getf2_npvt_panel_kernelI19rocblas_complex_numIdEllPS3_EEvT0_S5_T2_lS5_lPT1_S5_S5_,"axG",@progbits,_ZN9rocsolver6v33100L23getf2_npvt_panel_kernelI19rocblas_complex_numIdEllPS3_EEvT0_S5_T2_lS5_lPT1_S5_S5_,comdat
.Lfunc_end7:
	.size	_ZN9rocsolver6v33100L23getf2_npvt_panel_kernelI19rocblas_complex_numIdEllPS3_EEvT0_S5_T2_lS5_lPT1_S5_S5_, .Lfunc_end7-_ZN9rocsolver6v33100L23getf2_npvt_panel_kernelI19rocblas_complex_numIdEllPS3_EEvT0_S5_T2_lS5_lPT1_S5_S5_
                                        ; -- End function
	.section	.AMDGPU.csdata,"",@progbits
; Kernel info:
; codeLenInByte = 1744
; NumSgprs: 43
; NumVgprs: 33
; NumAgprs: 0
; TotalNumVgprs: 33
; ScratchSize: 0
; MemoryBound: 1
; FloatMode: 240
; IeeeMode: 1
; LDSByteSize: 0 bytes/workgroup (compile time only)
; SGPRBlocks: 5
; VGPRBlocks: 4
; NumSGPRsForWavesPerEU: 43
; NumVGPRsForWavesPerEU: 33
; AccumOffset: 36
; Occupancy: 8
; WaveLimiterHint : 0
; COMPUTE_PGM_RSRC2:SCRATCH_EN: 0
; COMPUTE_PGM_RSRC2:USER_SGPR: 6
; COMPUTE_PGM_RSRC2:TRAP_HANDLER: 0
; COMPUTE_PGM_RSRC2:TGID_X_EN: 1
; COMPUTE_PGM_RSRC2:TGID_Y_EN: 0
; COMPUTE_PGM_RSRC2:TGID_Z_EN: 1
; COMPUTE_PGM_RSRC2:TIDIG_COMP_CNT: 1
; COMPUTE_PGM_RSRC3_GFX90A:ACCUM_OFFSET: 8
; COMPUTE_PGM_RSRC3_GFX90A:TG_SPLIT: 0
	.section	.text._ZN9rocsolver6v33100L18getf2_panel_kernelI19rocblas_complex_numIdEllPKPS3_EEvT0_S7_T2_lS7_lPS7_llPT1_S7_S7_S9_l,"axG",@progbits,_ZN9rocsolver6v33100L18getf2_panel_kernelI19rocblas_complex_numIdEllPKPS3_EEvT0_S7_T2_lS7_lPS7_llPT1_S7_S7_S9_l,comdat
	.globl	_ZN9rocsolver6v33100L18getf2_panel_kernelI19rocblas_complex_numIdEllPKPS3_EEvT0_S7_T2_lS7_lPS7_llPT1_S7_S7_S9_l ; -- Begin function _ZN9rocsolver6v33100L18getf2_panel_kernelI19rocblas_complex_numIdEllPKPS3_EEvT0_S7_T2_lS7_lPS7_llPT1_S7_S7_S9_l
	.p2align	8
	.type	_ZN9rocsolver6v33100L18getf2_panel_kernelI19rocblas_complex_numIdEllPKPS3_EEvT0_S7_T2_lS7_lPS7_llPT1_S7_S7_S9_l,@function
_ZN9rocsolver6v33100L18getf2_panel_kernelI19rocblas_complex_numIdEllPKPS3_EEvT0_S7_T2_lS7_lPS7_llPT1_S7_S7_S9_l: ; @_ZN9rocsolver6v33100L18getf2_panel_kernelI19rocblas_complex_numIdEllPKPS3_EEvT0_S7_T2_lS7_lPS7_llPT1_S7_S7_S9_l
; %bb.0:
	s_load_dwordx8 s[12:19], s[4:5], 0x0
	s_load_dwordx2 s[30:31], s[4:5], 0x20
	s_load_dwordx4 s[24:27], s[4:5], 0x58
	s_mov_b32 s2, s7
	s_mov_b32 s3, 0
	s_lshl_b64 s[28:29], s[2:3], 3
	s_waitcnt lgkmcnt(0)
	s_add_u32 s6, s16, s28
	s_addc_u32 s7, s17, s29
	s_load_dwordx2 s[0:1], s[4:5], 0x68
	s_load_dword s38, s[4:5], 0x7c
	s_load_dwordx2 s[8:9], s[6:7], 0x0
	s_cmp_eq_u64 s[26:27], 0
	s_cselect_b64 s[34:35], -1, 0
	s_mov_b64 s[36:37], 0
	s_and_b64 vcc, exec, s[34:35]
	s_cbranch_vccnz .LBB8_2
; %bb.1:
	s_waitcnt lgkmcnt(0)
	s_mul_i32 s1, s2, s1
	s_mul_hi_u32 s3, s2, s0
	s_add_i32 s1, s3, s1
	s_mul_i32 s0, s2, s0
	s_lshl_b64 s[0:1], s[0:1], 3
	s_add_u32 s36, s26, s0
	s_addc_u32 s37, s27, s1
.LBB8_2:
	s_waitcnt lgkmcnt(0)
	s_and_b32 s3, s38, 0xffff
	s_lshl_b64 s[10:11], s[18:19], 4
	s_add_u32 s6, s8, s10
	s_addc_u32 s7, s9, s11
	s_lshl_b32 s0, s3, 4
	s_add_i32 s27, s0, 16
	s_lshl_b32 s0, s14, 4
	v_bfe_u32 v4, v0, 10, 10
	s_add_i32 s33, s27, s0
	s_lshl_b32 s0, s3, 3
	v_and_b32_e32 v8, 0x3ff, v0
	v_mov_b32_e32 v9, 0
	s_add_i32 s54, s33, s0
	v_cmp_eq_u32_e64 s[0:1], 0, v4
                                        ; implicit-def: $vgpr18_vgpr19
	s_and_saveexec_b64 s[16:17], s[0:1]
	s_cbranch_execz .LBB8_6
; %bb.3:
	v_pk_mov_b32 v[0:1], 0, 0
	v_cmp_gt_i64_e32 vcc, s[12:13], v[8:9]
	v_pk_mov_b32 v[2:3], v[0:1], v[0:1] op_sel:[0,1]
	s_and_saveexec_b64 s[18:19], vcc
	s_cbranch_execz .LBB8_5
; %bb.4:
	v_lshlrev_b32_e32 v0, 4, v8
	global_load_dwordx4 v[0:3], v0, s[6:7]
.LBB8_5:
	s_or_b64 exec, exec, s[18:19]
	v_lshl_add_u32 v5, v8, 4, 16
	s_waitcnt vmcnt(0)
	ds_write2_b64 v5, v[0:1], v[2:3] offset1:1
	v_xor_b32_e32 v5, 0x80000000, v1
	v_cmp_gt_f64_e32 vcc, 0, v[0:1]
	v_cndmask_b32_e32 v1, v1, v5, vcc
	v_cndmask_b32_e32 v0, v0, v0, vcc
	v_xor_b32_e32 v5, 0x80000000, v3
	v_cmp_gt_f64_e32 vcc, 0, v[2:3]
	v_cndmask_b32_e32 v3, v3, v5, vcc
	v_cndmask_b32_e32 v2, v2, v2, vcc
	v_add_f64 v[18:19], v[0:1], v[2:3]
	v_lshlrev_b32_e32 v0, 3, v8
	v_add_u32_e32 v1, s33, v0
	v_add_u32_e32 v0, s54, v0
	ds_write_b64 v1, v[18:19]
	ds_write_b64 v0, v[8:9]
.LBB8_6:
	s_or_b64 exec, exec, s[16:17]
	s_load_dwordx8 s[16:23], s[4:5], 0x30
	v_cmp_lt_i64_e64 s[4:5], s[14:15], 1
	s_and_b64 vcc, exec, s[4:5]
	s_cbranch_vccnz .LBB8_54
; %bb.7:
	s_waitcnt lgkmcnt(0)
	s_mul_i32 s4, s2, s21
	s_mul_hi_u32 s5, s2, s20
	s_add_i32 s5, s5, s4
	s_mul_i32 s4, s2, s20
	s_lshr_b32 s55, s38, 16
	s_lshl_b64 s[4:5], s[4:5], 3
	s_add_u32 s2, s16, s4
	v_lshlrev_b32_e32 v5, 4, v8
	s_addc_u32 s16, s17, s5
	s_lshl_b64 s[4:5], s[18:19], 3
	v_mov_b32_e32 v0, s7
	v_add_co_u32_e32 v13, vcc, s6, v5
	s_add_u32 s57, s2, s4
	v_addc_co_u32_e32 v26, vcc, 0, v0, vcc
	s_addc_u32 s58, s16, s5
	s_lshr_b32 s16, s3, 1
	v_or_b32_e32 v0, v8, v4
	s_cmp_gt_u32 s3, 1
	v_cmp_eq_u32_e64 s[2:3], 0, v0
	v_mad_u64_u32 v[0:1], s[38:39], v8, s30, 0
	v_mov_b32_e32 v2, v1
	v_mad_u64_u32 v[2:3], s[38:39], v8, s31, v[2:3]
	v_mov_b32_e32 v1, v2
	s_cselect_b64 s[18:19], -1, 0
	s_add_u32 s59, s24, 1
	v_cmp_gt_u64_e32 vcc, s[14:15], v[8:9]
	v_lshlrev_b64 v[0:1], 4, v[0:1]
	s_addc_u32 s60, s25, 0
	s_and_b64 s[20:21], s[0:1], vcc
	v_mov_b32_e32 v2, s7
	v_add_co_u32_e32 v30, vcc, s6, v0
	v_lshlrev_b32_e32 v6, 3, v8
	v_addc_co_u32_e32 v31, vcc, v2, v1, vcc
	v_add_u32_e32 v12, 2, v4
	v_mov_b32_e32 v0, s37
	v_add_co_u32_e32 v14, vcc, s36, v6
	v_addc_co_u32_e32 v15, vcc, 0, v0, vcc
	v_mad_u64_u32 v[0:1], s[38:39], s30, v12, 0
	v_mov_b32_e32 v2, v1
	v_mad_u64_u32 v[2:3], s[38:39], s31, v12, v[2:3]
	v_mov_b32_e32 v1, v2
	v_lshlrev_b64 v[0:1], 4, v[0:1]
	v_mov_b32_e32 v2, s11
	v_add_co_u32_e32 v0, vcc, s10, v0
	v_addc_co_u32_e32 v1, vcc, v1, v2, vcc
	v_add_co_u32_e32 v0, vcc, v0, v5
	v_addc_co_u32_e32 v1, vcc, 0, v1, vcc
	v_mov_b32_e32 v2, s9
	v_add_co_u32_e32 v0, vcc, s8, v0
	v_cmp_gt_i64_e64 s[4:5], s[12:13], v[8:9]
	v_cmp_le_i64_e64 s[6:7], s[12:13], v[8:9]
	s_add_u32 s12, s14, -1
	v_addc_co_u32_e32 v1, vcc, v1, v2, vcc
	s_mul_i32 s8, s31, s55
	s_mul_hi_u32 s9, s30, s55
	s_mov_b32 s26, 0
	s_addc_u32 s13, s15, -1
	v_add_co_u32_e32 v16, vcc, 8, v0
	s_add_i32 s9, s9, s8
	s_mul_i32 s8, s30, s55
	v_lshlrev_b32_e32 v0, 4, v4
	v_mov_b32_e32 v10, 0
	s_mov_b32 s56, s26
	s_mov_b32 s17, s26
	v_add_u32_e32 v27, s33, v6
	v_add_u32_e32 v28, s54, v6
	;; [unrolled: 1-line block ×4, first 2 shown]
	s_add_i32 s61, s27, 16
	v_addc_co_u32_e32 v17, vcc, 0, v1, vcc
	s_lshl_b64 s[40:41], s[30:31], 4
	s_lshl_b64 s[42:43], s[8:9], 4
	v_add3_u32 v33, s27, v0, 32
	s_lshl_b32 s62, s55, 4
	s_mov_b64 s[38:39], 0
	s_mov_b64 s[44:45], src_shared_base
	s_mov_b64 s[46:47], 0
	s_branch .LBB8_9
.LBB8_8:                                ;   in Loop: Header=BB8_9 Depth=1
	s_or_b64 exec, exec, s[8:9]
	s_add_u32 s46, s46, 1
	s_addc_u32 s47, s47, 0
	v_mov_b32_e32 v0, s41
	v_add_co_u32_e32 v16, vcc, s40, v16
	v_addc_co_u32_e32 v17, vcc, v17, v0, vcc
	s_cmp_eq_u64 s[46:47], s[14:15]
	v_add_u32_e32 v33, 16, v33
	s_cbranch_scc1 .LBB8_55
.LBB8_9:                                ; =>This Loop Header: Depth=1
                                        ;     Child Loop BB8_16 Depth 2
                                        ;     Child Loop BB8_48 Depth 2
	s_andn2_b64 vcc, exec, s[18:19]
	s_mov_b64 s[10:11], s[16:17]
	v_pk_mov_b32 v[0:1], v[8:9], v[8:9] op_sel:[0,1]
	s_barrier
	s_cbranch_vccnz .LBB8_18
; %bb.10:                               ;   in Loop: Header=BB8_9 Depth=1
	v_cmp_gt_u64_e32 vcc, s[10:11], v[8:9]
	s_and_b64 s[8:9], s[0:1], vcc
	s_and_saveexec_b64 s[48:49], s[8:9]
	s_cbranch_execz .LBB8_16
.LBB8_11:                               ;   in Loop: Header=BB8_9 Depth=1
	s_lshl_b32 s8, s10, 3
	v_add_u32_e32 v2, s8, v27
	ds_read_b64 v[2:3], v2
	v_add_u32_e32 v4, s8, v28
	ds_read_b64 v[4:5], v4
	s_waitcnt lgkmcnt(0)
	v_cmp_lt_f64_e64 s[50:51], v[18:19], v[2:3]
	v_cmp_nlt_f64_e32 vcc, v[18:19], v[2:3]
	s_and_saveexec_b64 s[52:53], vcc
	s_cbranch_execz .LBB8_13
; %bb.12:                               ;   in Loop: Header=BB8_9 Depth=1
	v_cmp_eq_f64_e32 vcc, v[18:19], v[2:3]
	s_waitcnt lgkmcnt(0)
	v_cmp_gt_i64_e64 s[8:9], v[0:1], v[4:5]
	s_and_b64 s[8:9], vcc, s[8:9]
	s_andn2_b64 s[50:51], s[50:51], exec
	s_and_b64 s[8:9], s[8:9], exec
	s_or_b64 s[50:51], s[50:51], s[8:9]
.LBB8_13:                               ;   in Loop: Header=BB8_9 Depth=1
	s_or_b64 exec, exec, s[52:53]
	s_and_saveexec_b64 s[8:9], s[50:51]
	s_cbranch_execz .LBB8_15
; %bb.14:                               ;   in Loop: Header=BB8_9 Depth=1
	v_pk_mov_b32 v[18:19], v[2:3], v[2:3] op_sel:[0,1]
	s_waitcnt lgkmcnt(0)
	v_pk_mov_b32 v[0:1], v[4:5], v[4:5] op_sel:[0,1]
	ds_write_b64 v27, v[2:3]
	ds_write_b64 v28, v[4:5]
.LBB8_15:                               ;   in Loop: Header=BB8_9 Depth=1
	s_or_b64 exec, exec, s[8:9]
.LBB8_16:                               ;   Parent Loop BB8_9 Depth=1
                                        ; =>  This Inner Loop Header: Depth=2
	s_or_b64 exec, exec, s[48:49]
	s_lshr_b64 s[8:9], s[10:11], 1
	v_cmp_lt_u64_e64 s[10:11], s[10:11], 2
	s_and_b64 vcc, exec, s[10:11]
	s_waitcnt lgkmcnt(0)
	s_barrier
	s_cbranch_vccnz .LBB8_18
; %bb.17:                               ;   in Loop: Header=BB8_16 Depth=2
	s_mov_b64 s[10:11], s[8:9]
	v_cmp_gt_u64_e32 vcc, s[10:11], v[8:9]
	s_and_b64 s[8:9], s[0:1], vcc
	s_and_saveexec_b64 s[48:49], s[8:9]
	s_cbranch_execnz .LBB8_11
	s_branch .LBB8_16
.LBB8_18:                               ;   in Loop: Header=BB8_9 Depth=1
	v_mov_b32_e32 v0, s54
	ds_read_b64 v[0:1], v0
	s_waitcnt lgkmcnt(0)
	v_lshlrev_b32_e32 v2, 4, v0
	v_add_u32_e32 v2, 16, v2
	ds_read2_b64 v[4:7], v2 offset1:1
	v_readfirstlane_b32 s48, v0
	v_readfirstlane_b32 s49, v1
	s_waitcnt lgkmcnt(0)
	v_cmp_eq_f64_e32 vcc, 0, v[4:5]
	v_cmp_eq_f64_e64 s[8:9], 0, v[6:7]
	s_and_b64 s[8:9], vcc, s[8:9]
	s_andn2_b64 vcc, exec, s[8:9]
	s_cbranch_vccz .LBB8_21
; %bb.19:                               ;   in Loop: Header=BB8_9 Depth=1
	v_xor_b32_e32 v0, 0x80000000, v5
	v_cmp_gt_f64_e32 vcc, 0, v[4:5]
	v_cndmask_b32_e32 v1, v5, v0, vcc
	v_xor_b32_e32 v2, 0x80000000, v7
	v_cmp_gt_f64_e32 vcc, 0, v[6:7]
	v_mov_b32_e32 v0, v4
	v_cndmask_b32_e32 v3, v7, v2, vcc
	v_mov_b32_e32 v2, v6
	v_cmp_ngt_f64_e32 vcc, v[0:1], v[2:3]
	s_cbranch_vccz .LBB8_22
; %bb.20:                               ;   in Loop: Header=BB8_9 Depth=1
	v_div_scale_f64 v[0:1], s[8:9], v[6:7], v[6:7], v[4:5]
	v_rcp_f64_e32 v[2:3], v[0:1]
	v_div_scale_f64 v[20:21], vcc, v[4:5], v[6:7], v[4:5]
	v_fma_f64 v[22:23], -v[0:1], v[2:3], 1.0
	v_fmac_f64_e32 v[2:3], v[2:3], v[22:23]
	v_fma_f64 v[22:23], -v[0:1], v[2:3], 1.0
	v_fmac_f64_e32 v[2:3], v[2:3], v[22:23]
	v_mul_f64 v[22:23], v[20:21], v[2:3]
	v_fma_f64 v[0:1], -v[0:1], v[22:23], v[20:21]
	v_div_fmas_f64 v[0:1], v[0:1], v[2:3], v[22:23]
	v_div_fixup_f64 v[0:1], v[0:1], v[6:7], v[4:5]
	v_fma_f64 v[2:3], v[4:5], v[0:1], v[6:7]
	v_div_scale_f64 v[20:21], s[8:9], v[2:3], v[2:3], 1.0
	v_rcp_f64_e32 v[22:23], v[20:21]
	v_fma_f64 v[24:25], -v[20:21], v[22:23], 1.0
	v_fmac_f64_e32 v[22:23], v[22:23], v[24:25]
	v_fma_f64 v[24:25], -v[20:21], v[22:23], 1.0
	v_fmac_f64_e32 v[22:23], v[22:23], v[24:25]
	v_div_scale_f64 v[24:25], vcc, 1.0, v[2:3], 1.0
	v_mul_f64 v[34:35], v[24:25], v[22:23]
	v_fma_f64 v[20:21], -v[20:21], v[34:35], v[24:25]
	s_nop 1
	v_div_fmas_f64 v[20:21], v[20:21], v[22:23], v[34:35]
	v_div_fixup_f64 v[2:3], v[20:21], v[2:3], 1.0
	v_mul_f64 v[0:1], v[0:1], v[2:3]
	v_xor_b32_e32 v3, 0x80000000, v3
	s_cbranch_execz .LBB8_23
	s_branch .LBB8_24
.LBB8_21:                               ;   in Loop: Header=BB8_9 Depth=1
                                        ; implicit-def: $sgpr48_sgpr49
                                        ; implicit-def: $vgpr2_vgpr3
	s_branch .LBB8_25
.LBB8_22:                               ;   in Loop: Header=BB8_9 Depth=1
                                        ; implicit-def: $vgpr2_vgpr3
.LBB8_23:                               ;   in Loop: Header=BB8_9 Depth=1
	v_div_scale_f64 v[0:1], s[8:9], v[4:5], v[4:5], v[6:7]
	v_rcp_f64_e32 v[2:3], v[0:1]
	v_div_scale_f64 v[20:21], vcc, v[6:7], v[4:5], v[6:7]
	v_fma_f64 v[22:23], -v[0:1], v[2:3], 1.0
	v_fmac_f64_e32 v[2:3], v[2:3], v[22:23]
	v_fma_f64 v[22:23], -v[0:1], v[2:3], 1.0
	v_fmac_f64_e32 v[2:3], v[2:3], v[22:23]
	v_mul_f64 v[22:23], v[20:21], v[2:3]
	v_fma_f64 v[0:1], -v[0:1], v[22:23], v[20:21]
	v_div_fmas_f64 v[0:1], v[0:1], v[2:3], v[22:23]
	v_div_fixup_f64 v[2:3], v[0:1], v[4:5], v[6:7]
	v_fma_f64 v[0:1], v[6:7], v[2:3], v[4:5]
	v_div_scale_f64 v[20:21], s[8:9], v[0:1], v[0:1], 1.0
	v_rcp_f64_e32 v[22:23], v[20:21]
	v_fma_f64 v[24:25], -v[20:21], v[22:23], 1.0
	v_fmac_f64_e32 v[22:23], v[22:23], v[24:25]
	v_fma_f64 v[24:25], -v[20:21], v[22:23], 1.0
	v_fmac_f64_e32 v[22:23], v[22:23], v[24:25]
	v_div_scale_f64 v[24:25], vcc, 1.0, v[0:1], 1.0
	v_mul_f64 v[34:35], v[24:25], v[22:23]
	v_fma_f64 v[20:21], -v[20:21], v[34:35], v[24:25]
	s_nop 1
	v_div_fmas_f64 v[20:21], v[20:21], v[22:23], v[34:35]
	v_div_fixup_f64 v[0:1], v[20:21], v[0:1], 1.0
	v_mul_f64 v[2:3], v[2:3], -v[0:1]
.LBB8_24:                               ;   in Loop: Header=BB8_9 Depth=1
	s_cbranch_execnz .LBB8_26
.LBB8_25:                               ;   in Loop: Header=BB8_9 Depth=1
	s_add_u32 s8, s46, 1
	s_addc_u32 s9, s47, 0
	s_cmp_eq_u64 s[38:39], 0
	s_cselect_b32 s39, s9, s39
	s_cselect_b32 s38, s8, s38
	v_pk_mov_b32 v[0:1], v[4:5], v[4:5] op_sel:[0,1]
	v_pk_mov_b32 v[2:3], v[6:7], v[6:7] op_sel:[0,1]
	s_mov_b64 s[48:49], s[46:47]
.LBB8_26:                               ;   in Loop: Header=BB8_9 Depth=1
	s_and_saveexec_b64 s[8:9], s[2:3]
	s_cbranch_execz .LBB8_28
; %bb.27:                               ;   in Loop: Header=BB8_9 Depth=1
	s_lshl_b64 s[10:11], s[46:47], 3
	s_add_u32 s10, s57, s10
	s_addc_u32 s11, s58, s11
	s_add_u32 s50, s59, s48
	s_addc_u32 s51, s60, s49
	v_pk_mov_b32 v[4:5], s[50:51], s[50:51] op_sel:[0,1]
	global_store_dwordx2 v10, v[4:5], s[10:11]
.LBB8_28:                               ;   in Loop: Header=BB8_9 Depth=1
	s_or_b64 exec, exec, s[8:9]
	v_cmp_eq_u64_e32 vcc, s[48:49], v[8:9]
	v_cmp_ne_u64_e64 s[8:9], s[48:49], v[8:9]
	s_and_saveexec_b64 s[10:11], s[8:9]
	s_cbranch_execz .LBB8_32
; %bb.29:                               ;   in Loop: Header=BB8_9 Depth=1
	ds_read2_b64 v[20:23], v29 offset1:1
	v_cmp_le_u64_e64 s[8:9], s[46:47], v[8:9]
	s_and_b64 s[8:9], s[4:5], s[8:9]
	s_and_b64 s[8:9], s[0:1], s[8:9]
	s_waitcnt lgkmcnt(0)
	v_mul_f64 v[4:5], v[2:3], v[22:23]
	v_mul_f64 v[6:7], v[0:1], v[22:23]
	v_fma_f64 v[4:5], v[0:1], v[20:21], -v[4:5]
	v_fmac_f64_e32 v[6:7], v[2:3], v[20:21]
	s_and_saveexec_b64 s[50:51], s[8:9]
	s_cbranch_execz .LBB8_31
; %bb.30:                               ;   in Loop: Header=BB8_9 Depth=1
	s_mul_i32 s8, s46, s31
	s_mul_hi_u32 s9, s46, s30
	s_add_i32 s8, s9, s8
	s_mul_i32 s9, s47, s30
	s_add_i32 s9, s8, s9
	s_mul_i32 s8, s46, s30
	s_lshl_b64 s[8:9], s[8:9], 4
	v_mov_b32_e32 v1, s9
	v_add_co_u32_e64 v0, s[8:9], s8, v13
	v_addc_co_u32_e64 v1, s[8:9], v26, v1, s[8:9]
	global_store_dwordx4 v[0:1], v[4:7], off
.LBB8_31:                               ;   in Loop: Header=BB8_9 Depth=1
	s_or_b64 exec, exec, s[50:51]
	v_pk_mov_b32 v[0:1], v[4:5], v[4:5] op_sel:[0,1]
	v_pk_mov_b32 v[2:3], v[6:7], v[6:7] op_sel:[0,1]
.LBB8_32:                               ;   in Loop: Header=BB8_9 Depth=1
	s_or_b64 exec, exec, s[10:11]
	s_and_saveexec_b64 s[10:11], s[20:21]
	s_cbranch_execz .LBB8_35
; %bb.33:                               ;   in Loop: Header=BB8_9 Depth=1
	s_lshl_b64 s[8:9], s[48:49], 4
	v_mov_b32_e32 v5, s9
	v_add_co_u32_e64 v4, s[8:9], s8, v30
	v_addc_co_u32_e64 v5, s[8:9], v31, v5, s[8:9]
	global_load_dwordx4 v[4:7], v[4:5], off
	v_cmp_eq_u64_e64 s[8:9], s[46:47], v[8:9]
	s_waitcnt vmcnt(0)
	ds_write2_b64 v32, v[4:5], v[6:7] offset1:1
	s_and_b64 exec, exec, s[8:9]
	s_cbranch_execz .LBB8_35
; %bb.34:                               ;   in Loop: Header=BB8_9 Depth=1
	ds_write_b128 v10, v[0:3]
.LBB8_35:                               ;   in Loop: Header=BB8_9 Depth=1
	s_or_b64 exec, exec, s[10:11]
	s_cmp_lg_u64 s[48:49], s[46:47]
	s_cselect_b64 s[8:9], -1, 0
	s_and_b64 s[8:9], s[20:21], s[8:9]
	s_waitcnt lgkmcnt(0)
	s_barrier
	s_and_saveexec_b64 s[50:51], s[8:9]
	s_cbranch_execz .LBB8_43
; %bb.36:                               ;   in Loop: Header=BB8_9 Depth=1
	s_lshl_b64 s[8:9], s[46:47], 4
	v_mov_b32_e32 v4, s9
	v_add_co_u32_e64 v20, s[8:9], s8, v30
	v_addc_co_u32_e64 v21, s[8:9], v31, v4, s[8:9]
	v_mov_b32_e32 v4, s45
	v_cmp_ne_u64_e64 s[8:9], s[46:47], v[8:9]
	v_cndmask_b32_e64 v5, v4, v21, s[8:9]
	v_cndmask_b32_e64 v4, 0, v20, s[8:9]
	flat_load_dwordx4 v[4:7], v[4:5]
	v_pk_mov_b32 v[22:23], 0, 0
	v_cmp_lt_u64_e64 s[10:11], s[46:47], v[8:9]
	v_pk_mov_b32 v[24:25], v[22:23], v[22:23] op_sel:[0,1]
	s_and_saveexec_b64 s[52:53], s[10:11]
	s_cbranch_execz .LBB8_38
; %bb.37:                               ;   in Loop: Header=BB8_9 Depth=1
	ds_read2_b64 v[34:37], v32 offset1:1
	ds_read_b128 v[38:41], v10
	s_waitcnt lgkmcnt(0)
	v_mul_f64 v[24:25], v[36:37], v[40:41]
	v_mul_f64 v[22:23], v[34:35], v[40:41]
	v_fma_f64 v[24:25], v[34:35], v[38:39], -v[24:25]
	v_fmac_f64_e32 v[22:23], v[36:37], v[38:39]
.LBB8_38:                               ;   in Loop: Header=BB8_9 Depth=1
	s_or_b64 exec, exec, s[52:53]
	s_lshl_b64 s[10:11], s[48:49], 4
	v_mov_b32_e32 v11, s11
	v_add_co_u32_e64 v34, s[10:11], s10, v30
	s_waitcnt vmcnt(0) lgkmcnt(0)
	v_add_f64 v[4:5], v[4:5], -v[24:25]
	v_add_f64 v[6:7], v[6:7], -v[22:23]
	ds_read2_b64 v[22:25], v32 offset1:1
	v_addc_co_u32_e64 v35, s[10:11], v31, v11, s[10:11]
	s_add_u32 s10, s46, 1
	s_addc_u32 s11, s47, 0
	v_cmp_eq_u64_e64 s[10:11], s[10:11], v[8:9]
	global_store_dwordx4 v[34:35], v[4:7], off
	s_waitcnt lgkmcnt(0)
	global_store_dwordx4 v[20:21], v[22:25], off
	s_and_saveexec_b64 s[52:53], s[10:11]
	s_cbranch_execz .LBB8_40
; %bb.39:                               ;   in Loop: Header=BB8_9 Depth=1
	s_lshl_b32 s10, s48, 3
	s_add_i32 s27, s33, s10
	v_xor_b32_e32 v11, 0x80000000, v5
	v_cmp_gt_f64_e64 s[10:11], 0, v[4:5]
	v_cndmask_b32_e64 v19, v5, v11, s[10:11]
	v_cndmask_b32_e64 v18, v4, v4, s[10:11]
	v_xor_b32_e32 v11, 0x80000000, v7
	v_cmp_gt_f64_e64 s[10:11], 0, v[6:7]
	v_cndmask_b32_e64 v21, v7, v11, s[10:11]
	v_cndmask_b32_e64 v20, v6, v6, s[10:11]
	s_lshl_b32 s10, s48, 4
	s_add_i32 s10, s10, 16
	v_mov_b32_e32 v11, s10
	v_add_f64 v[18:19], v[20:21], v[18:19]
	ds_write2_b64 v11, v[4:5], v[6:7] offset1:1
	v_mov_b32_e32 v4, s27
	ds_write_b64 v4, v[18:19]
.LBB8_40:                               ;   in Loop: Header=BB8_9 Depth=1
	s_or_b64 exec, exec, s[52:53]
	s_or_b64 s[8:9], s[34:35], s[8:9]
	s_xor_b64 s[10:11], s[8:9], -1
	s_and_saveexec_b64 s[8:9], s[10:11]
	s_cbranch_execz .LBB8_42
; %bb.41:                               ;   in Loop: Header=BB8_9 Depth=1
	s_lshl_b64 s[10:11], s[48:49], 3
	s_add_u32 s10, s36, s10
	s_addc_u32 s11, s37, s11
	v_pk_mov_b32 v[4:5], s[10:11], s[10:11] op_sel:[0,1]
	flat_load_dwordx2 v[6:7], v[4:5]
	flat_load_dwordx2 v[20:21], v[14:15]
	s_waitcnt vmcnt(0) lgkmcnt(0)
	flat_store_dwordx2 v[14:15], v[6:7]
	flat_store_dwordx2 v[4:5], v[20:21]
.LBB8_42:                               ;   in Loop: Header=BB8_9 Depth=1
	s_or_b64 exec, exec, s[8:9]
.LBB8_43:                               ;   in Loop: Header=BB8_9 Depth=1
	s_or_b64 exec, exec, s[50:51]
	v_cmp_ge_u64_e64 s[8:9], s[46:47], v[8:9]
	s_or_b64 s[10:11], s[6:7], s[8:9]
	s_or_b64 s[10:11], s[10:11], vcc
	s_xor_b64 s[48:49], s[10:11], -1
	s_and_saveexec_b64 s[10:11], s[48:49]
	s_cbranch_execnz .LBB8_46
; %bb.44:                               ;   in Loop: Header=BB8_9 Depth=1
	s_or_b64 exec, exec, s[10:11]
	s_and_b64 s[10:11], s[0:1], s[8:9]
	s_and_saveexec_b64 s[8:9], s[10:11]
	s_cbranch_execnz .LBB8_52
.LBB8_45:                               ;   in Loop: Header=BB8_9 Depth=1
	s_or_b64 exec, exec, s[8:9]
	s_and_saveexec_b64 s[8:9], s[0:1]
	s_cbranch_execz .LBB8_8
	s_branch .LBB8_53
.LBB8_46:                               ;   in Loop: Header=BB8_9 Depth=1
	v_mov_b32_e32 v5, s47
	v_add_co_u32_e32 v4, vcc, s46, v12
	v_addc_co_u32_e32 v5, vcc, 0, v5, vcc
	v_cmp_gt_i64_e32 vcc, s[14:15], v[4:5]
	s_and_saveexec_b64 s[48:49], vcc
	s_cbranch_execz .LBB8_49
; %bb.47:                               ;   in Loop: Header=BB8_9 Depth=1
	s_mov_b64 s[50:51], 0
	v_mov_b32_e32 v11, v33
	v_pk_mov_b32 v[6:7], v[16:17], v[16:17] op_sel:[0,1]
.LBB8_48:                               ;   Parent Loop BB8_9 Depth=1
                                        ; =>  This Inner Loop Header: Depth=2
	global_load_dwordx4 v[20:23], v[6:7], off offset:-8
	ds_read2_b64 v[34:37], v11 offset1:1
	v_mov_b32_e32 v24, s56
	v_add_co_u32_e32 v4, vcc, s55, v4
	v_addc_co_u32_e32 v5, vcc, v5, v24, vcc
	s_waitcnt lgkmcnt(0)
	v_mul_f64 v[24:25], v[2:3], v[36:37]
	v_mul_f64 v[36:37], v[0:1], v[36:37]
	v_fma_f64 v[24:25], v[0:1], v[34:35], -v[24:25]
	v_fmac_f64_e32 v[36:37], v[2:3], v[34:35]
	v_cmp_le_i64_e32 vcc, s[14:15], v[4:5]
	v_mov_b32_e32 v38, s43
	s_or_b64 s[50:51], vcc, s[50:51]
	v_add_u32_e32 v11, s62, v11
	s_waitcnt vmcnt(0)
	v_add_f64 v[20:21], v[20:21], -v[24:25]
	v_add_f64 v[22:23], v[22:23], -v[36:37]
	global_store_dwordx4 v[6:7], v[20:23], off offset:-8
	v_add_co_u32_e32 v6, vcc, s42, v6
	v_addc_co_u32_e32 v7, vcc, v7, v38, vcc
	s_andn2_b64 exec, exec, s[50:51]
	s_cbranch_execnz .LBB8_48
.LBB8_49:                               ;   in Loop: Header=BB8_9 Depth=1
	s_or_b64 exec, exec, s[48:49]
	v_pk_mov_b32 v[4:5], s[12:13], s[12:13] op_sel:[0,1]
	v_cmp_lt_i64_e32 vcc, s[46:47], v[4:5]
	s_and_b64 s[50:51], s[0:1], vcc
	s_and_saveexec_b64 s[48:49], s[50:51]
	s_cbranch_execz .LBB8_51
; %bb.50:                               ;   in Loop: Header=BB8_9 Depth=1
	s_add_u32 s27, s46, 1
	s_addc_u32 s44, s47, 0
	s_mul_i32 s50, s27, s31
	s_mul_hi_u32 s51, s27, s30
	s_add_i32 s50, s51, s50
	s_mul_i32 s44, s44, s30
	s_add_i32 s51, s50, s44
	s_mul_i32 s50, s27, s30
	s_lshl_b64 s[50:51], s[50:51], 4
	v_mov_b32_e32 v4, s51
	v_add_co_u32_e32 v22, vcc, s50, v13
	v_addc_co_u32_e32 v23, vcc, v26, v4, vcc
	global_load_dwordx4 v[4:7], v[22:23], off
	s_lshl_b32 s27, s46, 4
	s_add_i32 s27, s61, s27
	v_mov_b32_e32 v11, s27
	ds_read2_b64 v[18:21], v11 offset1:1
	s_waitcnt lgkmcnt(0)
	v_mul_f64 v[24:25], v[2:3], v[20:21]
	v_mul_f64 v[20:21], v[0:1], v[20:21]
	v_fma_f64 v[0:1], v[0:1], v[18:19], -v[24:25]
	v_fmac_f64_e32 v[20:21], v[2:3], v[18:19]
	s_waitcnt vmcnt(0)
	v_add_f64 v[0:1], v[4:5], -v[0:1]
	v_add_f64 v[2:3], v[6:7], -v[20:21]
	v_xor_b32_e32 v4, 0x80000000, v1
	v_cmp_gt_f64_e32 vcc, 0, v[0:1]
	global_store_dwordx4 v[22:23], v[0:3], off
	ds_write2_b64 v29, v[0:1], v[2:3] offset1:1
	v_xor_b32_e32 v5, 0x80000000, v3
	v_cndmask_b32_e32 v1, v1, v4, vcc
	v_cndmask_b32_e32 v0, v0, v0, vcc
	v_cmp_gt_f64_e32 vcc, 0, v[2:3]
	v_cndmask_b32_e32 v3, v3, v5, vcc
	v_cndmask_b32_e32 v2, v2, v2, vcc
	v_add_f64 v[18:19], v[0:1], v[2:3]
	ds_write_b64 v27, v[18:19]
.LBB8_51:                               ;   in Loop: Header=BB8_9 Depth=1
	s_or_b64 exec, exec, s[48:49]
	s_or_b64 exec, exec, s[10:11]
	s_and_b64 s[10:11], s[0:1], s[8:9]
	s_and_saveexec_b64 s[8:9], s[10:11]
	s_cbranch_execz .LBB8_45
.LBB8_52:                               ;   in Loop: Header=BB8_9 Depth=1
	s_mov_b32 s27, s26
	s_mov_b32 s10, s26
	;; [unrolled: 1-line block ×3, first 2 shown]
	v_pk_mov_b32 v[0:1], s[26:27], s[26:27] op_sel:[0,1]
	v_pk_mov_b32 v[2:3], s[10:11], s[10:11] op_sel:[0,1]
	v_mov_b32_e32 v11, v10
	v_pk_mov_b32 v[18:19], 0, 0
	ds_write2_b64 v29, v[0:1], v[2:3] offset1:1
	ds_write_b64 v27, v[10:11]
	s_or_b64 exec, exec, s[8:9]
	s_and_saveexec_b64 s[8:9], s[0:1]
	s_cbranch_execz .LBB8_8
.LBB8_53:                               ;   in Loop: Header=BB8_9 Depth=1
	ds_write_b64 v28, v[8:9]
	s_branch .LBB8_8
.LBB8_54:
	s_mov_b64 s[38:39], 0
.LBB8_55:
	v_cmp_eq_u32_e32 vcc, 0, v8
	s_and_saveexec_b64 s[2:3], vcc
	s_cbranch_execz .LBB8_58
; %bb.56:
	s_waitcnt lgkmcnt(0)
	s_add_u32 s2, s22, s28
	s_addc_u32 s3, s23, s29
	v_mov_b32_e32 v0, 0
	global_load_dwordx2 v[2:3], v0, s[2:3]
	v_cmp_gt_i64_e64 s[6:7], s[38:39], 0
	s_waitcnt vmcnt(0)
	v_readfirstlane_b32 s4, v2
	v_readfirstlane_b32 s5, v3
	s_cmp_eq_u64 s[4:5], 0
	s_cselect_b64 s[4:5], -1, 0
	s_and_b64 s[4:5], s[4:5], s[6:7]
	s_and_b64 s[0:1], s[0:1], s[4:5]
	s_and_b64 exec, exec, s[0:1]
	s_cbranch_execz .LBB8_58
; %bb.57:
	s_add_u32 s0, s38, s24
	s_addc_u32 s1, s39, s25
	v_pk_mov_b32 v[2:3], s[0:1], s[0:1] op_sel:[0,1]
	global_store_dwordx2 v0, v[2:3], s[2:3]
.LBB8_58:
	s_endpgm
	.section	.rodata,"a",@progbits
	.p2align	6, 0x0
	.amdhsa_kernel _ZN9rocsolver6v33100L18getf2_panel_kernelI19rocblas_complex_numIdEllPKPS3_EEvT0_S7_T2_lS7_lPS7_llPT1_S7_S7_S9_l
		.amdhsa_group_segment_fixed_size 16
		.amdhsa_private_segment_fixed_size 0
		.amdhsa_kernarg_size 368
		.amdhsa_user_sgpr_count 6
		.amdhsa_user_sgpr_private_segment_buffer 1
		.amdhsa_user_sgpr_dispatch_ptr 0
		.amdhsa_user_sgpr_queue_ptr 0
		.amdhsa_user_sgpr_kernarg_segment_ptr 1
		.amdhsa_user_sgpr_dispatch_id 0
		.amdhsa_user_sgpr_flat_scratch_init 0
		.amdhsa_user_sgpr_kernarg_preload_length 0
		.amdhsa_user_sgpr_kernarg_preload_offset 0
		.amdhsa_user_sgpr_private_segment_size 0
		.amdhsa_uses_dynamic_stack 0
		.amdhsa_system_sgpr_private_segment_wavefront_offset 0
		.amdhsa_system_sgpr_workgroup_id_x 1
		.amdhsa_system_sgpr_workgroup_id_y 0
		.amdhsa_system_sgpr_workgroup_id_z 1
		.amdhsa_system_sgpr_workgroup_info 0
		.amdhsa_system_vgpr_workitem_id 1
		.amdhsa_next_free_vgpr 42
		.amdhsa_next_free_sgpr 63
		.amdhsa_accum_offset 44
		.amdhsa_reserve_vcc 1
		.amdhsa_reserve_flat_scratch 0
		.amdhsa_float_round_mode_32 0
		.amdhsa_float_round_mode_16_64 0
		.amdhsa_float_denorm_mode_32 3
		.amdhsa_float_denorm_mode_16_64 3
		.amdhsa_dx10_clamp 1
		.amdhsa_ieee_mode 1
		.amdhsa_fp16_overflow 0
		.amdhsa_tg_split 0
		.amdhsa_exception_fp_ieee_invalid_op 0
		.amdhsa_exception_fp_denorm_src 0
		.amdhsa_exception_fp_ieee_div_zero 0
		.amdhsa_exception_fp_ieee_overflow 0
		.amdhsa_exception_fp_ieee_underflow 0
		.amdhsa_exception_fp_ieee_inexact 0
		.amdhsa_exception_int_div_zero 0
	.end_amdhsa_kernel
	.section	.text._ZN9rocsolver6v33100L18getf2_panel_kernelI19rocblas_complex_numIdEllPKPS3_EEvT0_S7_T2_lS7_lPS7_llPT1_S7_S7_S9_l,"axG",@progbits,_ZN9rocsolver6v33100L18getf2_panel_kernelI19rocblas_complex_numIdEllPKPS3_EEvT0_S7_T2_lS7_lPS7_llPT1_S7_S7_S9_l,comdat
.Lfunc_end8:
	.size	_ZN9rocsolver6v33100L18getf2_panel_kernelI19rocblas_complex_numIdEllPKPS3_EEvT0_S7_T2_lS7_lPS7_llPT1_S7_S7_S9_l, .Lfunc_end8-_ZN9rocsolver6v33100L18getf2_panel_kernelI19rocblas_complex_numIdEllPKPS3_EEvT0_S7_T2_lS7_lPS7_llPT1_S7_S7_S9_l
                                        ; -- End function
	.section	.AMDGPU.csdata,"",@progbits
; Kernel info:
; codeLenInByte = 2940
; NumSgprs: 67
; NumVgprs: 42
; NumAgprs: 0
; TotalNumVgprs: 42
; ScratchSize: 0
; MemoryBound: 1
; FloatMode: 240
; IeeeMode: 1
; LDSByteSize: 16 bytes/workgroup (compile time only)
; SGPRBlocks: 8
; VGPRBlocks: 5
; NumSGPRsForWavesPerEU: 67
; NumVGPRsForWavesPerEU: 42
; AccumOffset: 44
; Occupancy: 8
; WaveLimiterHint : 1
; COMPUTE_PGM_RSRC2:SCRATCH_EN: 0
; COMPUTE_PGM_RSRC2:USER_SGPR: 6
; COMPUTE_PGM_RSRC2:TRAP_HANDLER: 0
; COMPUTE_PGM_RSRC2:TGID_X_EN: 1
; COMPUTE_PGM_RSRC2:TGID_Y_EN: 0
; COMPUTE_PGM_RSRC2:TGID_Z_EN: 1
; COMPUTE_PGM_RSRC2:TIDIG_COMP_CNT: 1
; COMPUTE_PGM_RSRC3_GFX90A:ACCUM_OFFSET: 10
; COMPUTE_PGM_RSRC3_GFX90A:TG_SPLIT: 0
	.section	.text._ZN9rocsolver6v33100L23getf2_npvt_panel_kernelI19rocblas_complex_numIdEllPKPS3_EEvT0_S7_T2_lS7_lPT1_S7_S7_,"axG",@progbits,_ZN9rocsolver6v33100L23getf2_npvt_panel_kernelI19rocblas_complex_numIdEllPKPS3_EEvT0_S7_T2_lS7_lPT1_S7_S7_,comdat
	.globl	_ZN9rocsolver6v33100L23getf2_npvt_panel_kernelI19rocblas_complex_numIdEllPKPS3_EEvT0_S7_T2_lS7_lPT1_S7_S7_ ; -- Begin function _ZN9rocsolver6v33100L23getf2_npvt_panel_kernelI19rocblas_complex_numIdEllPKPS3_EEvT0_S7_T2_lS7_lPT1_S7_S7_
	.p2align	8
	.type	_ZN9rocsolver6v33100L23getf2_npvt_panel_kernelI19rocblas_complex_numIdEllPKPS3_EEvT0_S7_T2_lS7_lPT1_S7_S7_,@function
_ZN9rocsolver6v33100L23getf2_npvt_panel_kernelI19rocblas_complex_numIdEllPKPS3_EEvT0_S7_T2_lS7_lPT1_S7_S7_: ; @_ZN9rocsolver6v33100L23getf2_npvt_panel_kernelI19rocblas_complex_numIdEllPKPS3_EEvT0_S7_T2_lS7_lPT1_S7_S7_
; %bb.0:
	s_load_dwordx8 s[8:15], s[4:5], 0x0
	s_mov_b32 s0, s7
	s_mov_b32 s1, 0
	s_lshl_b64 s[16:17], s[0:1], 3
	v_bfe_u32 v10, v0, 10, 10
	s_waitcnt lgkmcnt(0)
	s_add_u32 s0, s12, s16
	s_addc_u32 s1, s13, s17
	s_load_dwordx2 s[6:7], s[0:1], 0x0
	s_load_dwordx2 s[12:13], s[4:5], 0x20
	s_load_dword s22, s[4:5], 0x54
	s_lshl_b64 s[18:19], s[14:15], 4
	v_and_b32_e32 v4, 0x3ff, v0
	v_mov_b32_e32 v5, 0
	s_waitcnt lgkmcnt(0)
	s_add_u32 s20, s6, s18
	s_addc_u32 s21, s7, s19
	v_cmp_eq_u32_e64 s[0:1], 0, v10
	s_and_saveexec_b64 s[2:3], s[0:1]
	s_cbranch_execz .LBB9_4
; %bb.1:
	v_pk_mov_b32 v[0:1], 0, 0
	v_cmp_gt_i64_e32 vcc, s[8:9], v[4:5]
	v_pk_mov_b32 v[2:3], v[0:1], v[0:1] op_sel:[0,1]
	s_and_saveexec_b64 s[14:15], vcc
	s_cbranch_execz .LBB9_3
; %bb.2:
	v_lshlrev_b32_e32 v0, 4, v4
	global_load_dwordx4 v[0:3], v0, s[20:21]
.LBB9_3:
	s_or_b64 exec, exec, s[14:15]
	v_lshl_add_u32 v6, v4, 4, 0
	s_waitcnt vmcnt(0)
	ds_write2_b64 v6, v[0:1], v[2:3] offset1:1
.LBB9_4:
	s_or_b64 exec, exec, s[2:3]
	v_cmp_lt_i64_e64 s[2:3], s[10:11], 1
	s_and_b64 vcc, exec, s[2:3]
	s_cbranch_vccnz .LBB9_29
; %bb.5:
	v_lshlrev_b32_e32 v8, 4, v4
	v_mov_b32_e32 v0, s21
	v_add_co_u32_e32 v7, vcc, s20, v8
	v_addc_co_u32_e32 v14, vcc, 0, v0, vcc
	s_lshr_b32 s33, s22, 16
	s_and_b32 s2, s22, 0xffff
	v_mad_u64_u32 v[0:1], s[22:23], v4, s12, 0
	v_mov_b32_e32 v2, v1
	v_mad_u64_u32 v[2:3], s[22:23], v4, s13, v[2:3]
	v_mov_b32_e32 v1, v2
	s_lshl_b32 s2, s2, 4
	v_cmp_gt_u64_e32 vcc, s[10:11], v[4:5]
	v_lshlrev_b64 v[0:1], 4, v[0:1]
	s_add_i32 s15, s2, 0
	v_cmp_gt_i64_e64 s[2:3], s[8:9], v[4:5]
	s_and_b64 s[8:9], s[0:1], vcc
	v_mov_b32_e32 v2, s21
	v_add_co_u32_e32 v16, vcc, s20, v0
	v_add_u32_e32 v6, 2, v10
	v_addc_co_u32_e32 v17, vcc, v2, v1, vcc
	v_mad_u64_u32 v[0:1], s[22:23], s12, v6, 0
	v_mov_b32_e32 v2, v1
	v_mad_u64_u32 v[2:3], s[22:23], s13, v6, v[2:3]
	v_mov_b32_e32 v1, v2
	v_lshlrev_b64 v[0:1], 4, v[0:1]
	v_mov_b32_e32 v2, s19
	v_add_co_u32_e32 v0, vcc, s18, v0
	v_addc_co_u32_e32 v1, vcc, v1, v2, vcc
	v_add_co_u32_e32 v0, vcc, v0, v8
	v_addc_co_u32_e32 v1, vcc, 0, v1, vcc
	v_mov_b32_e32 v2, s7
	v_add_co_u32_e32 v0, vcc, s6, v0
	s_add_u32 s20, s10, -1
	v_addc_co_u32_e32 v1, vcc, v1, v2, vcc
	s_mul_i32 s6, s13, s33
	s_mul_hi_u32 s7, s12, s33
	s_mov_b32 s14, 0
	v_add_u32_e32 v15, 0, v8
	v_add_u32_e32 v18, s15, v8
	s_addc_u32 s21, s11, -1
	v_add_co_u32_e32 v8, vcc, 8, v0
	s_add_i32 s7, s7, s6
	s_mul_i32 s6, s12, s33
	v_lshlrev_b32_e32 v0, 4, v10
	s_mov_b32 s34, s14
	s_add_i32 s35, s15, 16
	v_addc_co_u32_e32 v9, vcc, 0, v1, vcc
	s_lshl_b64 s[22:23], s[12:13], 4
	s_lshl_b64 s[24:25], s[6:7], 4
	v_add3_u32 v19, s15, v0, 32
	s_lshl_b32 s36, s33, 4
	s_mov_b64 s[18:19], 0
	s_mov_b64 s[26:27], 0
	s_branch .LBB9_7
.LBB9_6:                                ;   in Loop: Header=BB9_7 Depth=1
	s_or_b64 exec, exec, s[6:7]
	s_add_u32 s26, s26, 1
	s_addc_u32 s27, s27, 0
	v_mov_b32_e32 v0, s23
	v_add_co_u32_e32 v8, vcc, s22, v8
	v_addc_co_u32_e32 v9, vcc, v9, v0, vcc
	s_cmp_eq_u64 s[26:27], s[10:11]
	v_add_u32_e32 v19, 16, v19
	s_cbranch_scc1 .LBB9_30
.LBB9_7:                                ; =>This Loop Header: Depth=1
                                        ;     Child Loop BB9_21 Depth 2
	s_lshl_b32 s15, s26, 4
	s_add_i32 s6, s15, 0
	v_mov_b32_e32 v0, s6
	s_waitcnt lgkmcnt(0)
	s_barrier
	ds_read2_b64 v[0:3], v0 offset1:1
	s_waitcnt lgkmcnt(0)
	v_cmp_eq_f64_e32 vcc, 0, v[0:1]
	v_cmp_eq_f64_e64 s[6:7], 0, v[2:3]
	s_and_b64 s[6:7], vcc, s[6:7]
	s_cmp_eq_u64 s[18:19], 0
	s_cselect_b64 s[28:29], -1, 0
	s_and_b64 s[6:7], s[6:7], s[28:29]
	s_andn2_b64 vcc, exec, s[6:7]
	s_cbranch_vccz .LBB9_10
; %bb.8:                                ;   in Loop: Header=BB9_7 Depth=1
	v_xor_b32_e32 v10, 0x80000000, v1
	v_cmp_gt_f64_e32 vcc, 0, v[0:1]
	v_cndmask_b32_e32 v11, v1, v10, vcc
	v_xor_b32_e32 v12, 0x80000000, v3
	v_cmp_gt_f64_e32 vcc, 0, v[2:3]
	v_mov_b32_e32 v10, v0
	v_cndmask_b32_e32 v13, v3, v12, vcc
	v_mov_b32_e32 v12, v2
	v_cmp_ngt_f64_e32 vcc, v[10:11], v[12:13]
	s_cbranch_vccz .LBB9_11
; %bb.9:                                ;   in Loop: Header=BB9_7 Depth=1
	v_div_scale_f64 v[10:11], s[6:7], v[2:3], v[2:3], v[0:1]
	v_rcp_f64_e32 v[12:13], v[10:11]
	v_div_scale_f64 v[20:21], vcc, v[0:1], v[2:3], v[0:1]
	v_fma_f64 v[22:23], -v[10:11], v[12:13], 1.0
	v_fmac_f64_e32 v[12:13], v[12:13], v[22:23]
	v_fma_f64 v[22:23], -v[10:11], v[12:13], 1.0
	v_fmac_f64_e32 v[12:13], v[12:13], v[22:23]
	v_mul_f64 v[22:23], v[20:21], v[12:13]
	v_fma_f64 v[10:11], -v[10:11], v[22:23], v[20:21]
	v_div_fmas_f64 v[10:11], v[10:11], v[12:13], v[22:23]
	v_div_fixup_f64 v[12:13], v[10:11], v[2:3], v[0:1]
	v_fma_f64 v[10:11], v[0:1], v[12:13], v[2:3]
	v_div_scale_f64 v[20:21], s[6:7], v[10:11], v[10:11], 1.0
	v_rcp_f64_e32 v[22:23], v[20:21]
	v_fma_f64 v[24:25], -v[20:21], v[22:23], 1.0
	v_fmac_f64_e32 v[22:23], v[22:23], v[24:25]
	v_fma_f64 v[24:25], -v[20:21], v[22:23], 1.0
	v_fmac_f64_e32 v[22:23], v[22:23], v[24:25]
	v_div_scale_f64 v[24:25], vcc, 1.0, v[10:11], 1.0
	v_mul_f64 v[26:27], v[24:25], v[22:23]
	v_fma_f64 v[20:21], -v[20:21], v[26:27], v[24:25]
	s_nop 1
	v_div_fmas_f64 v[20:21], v[20:21], v[22:23], v[26:27]
	v_div_fixup_f64 v[10:11], v[20:21], v[10:11], 1.0
	v_mul_f64 v[12:13], v[12:13], v[10:11]
	v_xor_b32_e32 v11, 0x80000000, v11
	s_cbranch_execz .LBB9_12
	s_branch .LBB9_13
.LBB9_10:                               ;   in Loop: Header=BB9_7 Depth=1
                                        ; implicit-def: $sgpr18_sgpr19
                                        ; implicit-def: $vgpr10_vgpr11
                                        ; implicit-def: $vgpr12_vgpr13
	s_branch .LBB9_14
.LBB9_11:                               ;   in Loop: Header=BB9_7 Depth=1
                                        ; implicit-def: $vgpr10_vgpr11
                                        ; implicit-def: $vgpr12_vgpr13
.LBB9_12:                               ;   in Loop: Header=BB9_7 Depth=1
	v_div_scale_f64 v[10:11], s[6:7], v[0:1], v[0:1], v[2:3]
	v_rcp_f64_e32 v[12:13], v[10:11]
	v_div_scale_f64 v[20:21], vcc, v[2:3], v[0:1], v[2:3]
	v_fma_f64 v[22:23], -v[10:11], v[12:13], 1.0
	v_fmac_f64_e32 v[12:13], v[12:13], v[22:23]
	v_fma_f64 v[22:23], -v[10:11], v[12:13], 1.0
	v_fmac_f64_e32 v[12:13], v[12:13], v[22:23]
	v_mul_f64 v[22:23], v[20:21], v[12:13]
	v_fma_f64 v[10:11], -v[10:11], v[22:23], v[20:21]
	v_div_fmas_f64 v[10:11], v[10:11], v[12:13], v[22:23]
	v_div_fixup_f64 v[10:11], v[10:11], v[0:1], v[2:3]
	v_fma_f64 v[12:13], v[2:3], v[10:11], v[0:1]
	v_div_scale_f64 v[20:21], s[6:7], v[12:13], v[12:13], 1.0
	v_rcp_f64_e32 v[22:23], v[20:21]
	v_fma_f64 v[24:25], -v[20:21], v[22:23], 1.0
	v_fmac_f64_e32 v[22:23], v[22:23], v[24:25]
	v_fma_f64 v[24:25], -v[20:21], v[22:23], 1.0
	v_fmac_f64_e32 v[22:23], v[22:23], v[24:25]
	v_div_scale_f64 v[24:25], vcc, 1.0, v[12:13], 1.0
	v_mul_f64 v[26:27], v[24:25], v[22:23]
	v_fma_f64 v[20:21], -v[20:21], v[26:27], v[24:25]
	s_nop 1
	v_div_fmas_f64 v[20:21], v[20:21], v[22:23], v[26:27]
	v_div_fixup_f64 v[12:13], v[20:21], v[12:13], 1.0
	v_mul_f64 v[10:11], v[10:11], -v[12:13]
.LBB9_13:                               ;   in Loop: Header=BB9_7 Depth=1
	s_cbranch_execnz .LBB9_15
.LBB9_14:                               ;   in Loop: Header=BB9_7 Depth=1
	s_add_u32 s18, s26, 1
	s_addc_u32 s19, s27, 0
	v_pk_mov_b32 v[12:13], v[0:1], v[0:1] op_sel:[0,1]
	v_pk_mov_b32 v[10:11], v[2:3], v[2:3] op_sel:[0,1]
.LBB9_15:                               ;   in Loop: Header=BB9_7 Depth=1
	v_cmp_ne_u64_e32 vcc, s[26:27], v[4:5]
	s_and_saveexec_b64 s[6:7], vcc
	s_cbranch_execnz .LBB9_26
; %bb.16:                               ;   in Loop: Header=BB9_7 Depth=1
	s_or_b64 exec, exec, s[6:7]
	s_and_saveexec_b64 s[6:7], s[8:9]
	s_cbranch_execz .LBB9_18
.LBB9_17:                               ;   in Loop: Header=BB9_7 Depth=1
	s_lshl_b64 s[28:29], s[26:27], 4
	v_mov_b32_e32 v1, s29
	v_add_co_u32_e32 v0, vcc, s28, v16
	v_addc_co_u32_e32 v1, vcc, v17, v1, vcc
	global_load_dwordx4 v[0:3], v[0:1], off
	s_waitcnt vmcnt(0)
	ds_write2_b64 v18, v[0:1], v[2:3] offset1:1
.LBB9_18:                               ;   in Loop: Header=BB9_7 Depth=1
	s_or_b64 exec, exec, s[6:7]
	v_cmp_lt_u64_e32 vcc, s[26:27], v[4:5]
	s_and_b64 s[28:29], s[2:3], vcc
	s_waitcnt lgkmcnt(0)
	s_barrier
	s_and_saveexec_b64 s[6:7], s[28:29]
	s_cbranch_execz .LBB9_24
; %bb.19:                               ;   in Loop: Header=BB9_7 Depth=1
	v_mov_b32_e32 v1, s27
	v_add_co_u32_e32 v0, vcc, s26, v6
	v_addc_co_u32_e32 v1, vcc, 0, v1, vcc
	v_cmp_gt_i64_e32 vcc, s[10:11], v[0:1]
	s_and_saveexec_b64 s[28:29], vcc
	s_cbranch_execz .LBB9_22
; %bb.20:                               ;   in Loop: Header=BB9_7 Depth=1
	s_mov_b64 s[30:31], 0
	v_mov_b32_e32 v20, v19
	v_pk_mov_b32 v[2:3], v[8:9], v[8:9] op_sel:[0,1]
.LBB9_21:                               ;   Parent Loop BB9_7 Depth=1
                                        ; =>  This Inner Loop Header: Depth=2
	global_load_dwordx4 v[22:25], v[2:3], off offset:-8
	ds_read2_b64 v[26:29], v20 offset1:1
	v_mov_b32_e32 v21, s34
	v_add_co_u32_e32 v0, vcc, s33, v0
	v_addc_co_u32_e32 v1, vcc, v1, v21, vcc
	s_waitcnt lgkmcnt(0)
	v_mul_f64 v[30:31], v[10:11], v[28:29]
	v_mul_f64 v[28:29], v[12:13], v[28:29]
	v_fma_f64 v[30:31], v[12:13], v[26:27], -v[30:31]
	v_fmac_f64_e32 v[28:29], v[10:11], v[26:27]
	v_cmp_le_i64_e32 vcc, s[10:11], v[0:1]
	v_mov_b32_e32 v32, s25
	s_or_b64 s[30:31], vcc, s[30:31]
	v_add_u32_e32 v20, s36, v20
	s_waitcnt vmcnt(0)
	v_add_f64 v[22:23], v[22:23], -v[30:31]
	v_add_f64 v[24:25], v[24:25], -v[28:29]
	global_store_dwordx4 v[2:3], v[22:25], off offset:-8
	v_add_co_u32_e32 v2, vcc, s24, v2
	v_addc_co_u32_e32 v3, vcc, v3, v32, vcc
	s_andn2_b64 exec, exec, s[30:31]
	s_cbranch_execnz .LBB9_21
.LBB9_22:                               ;   in Loop: Header=BB9_7 Depth=1
	s_or_b64 exec, exec, s[28:29]
	v_pk_mov_b32 v[0:1], s[20:21], s[20:21] op_sel:[0,1]
	v_cmp_lt_i64_e32 vcc, s[26:27], v[0:1]
	s_and_b64 s[28:29], s[0:1], vcc
	s_and_b64 exec, exec, s[28:29]
	s_cbranch_execz .LBB9_24
; %bb.23:                               ;   in Loop: Header=BB9_7 Depth=1
	s_add_u32 s28, s26, 1
	s_addc_u32 s29, s27, 0
	s_mul_i32 s30, s28, s13
	s_mul_hi_u32 s31, s28, s12
	s_add_i32 s30, s31, s30
	s_mul_i32 s29, s29, s12
	s_add_i32 s29, s30, s29
	s_mul_i32 s28, s28, s12
	s_lshl_b64 s[28:29], s[28:29], 4
	v_mov_b32_e32 v0, s29
	v_add_co_u32_e32 v24, vcc, s28, v7
	v_addc_co_u32_e32 v25, vcc, v14, v0, vcc
	global_load_dwordx4 v[0:3], v[24:25], off
	s_add_i32 s15, s35, s15
	v_mov_b32_e32 v20, s15
	ds_read2_b64 v[20:23], v20 offset1:1
	s_waitcnt lgkmcnt(0)
	v_mul_f64 v[26:27], v[10:11], v[22:23]
	v_mul_f64 v[22:23], v[12:13], v[22:23]
	v_fma_f64 v[12:13], v[12:13], v[20:21], -v[26:27]
	v_fmac_f64_e32 v[22:23], v[10:11], v[20:21]
	s_waitcnt vmcnt(0)
	v_add_f64 v[0:1], v[0:1], -v[12:13]
	v_add_f64 v[2:3], v[2:3], -v[22:23]
	global_store_dwordx4 v[24:25], v[0:3], off
	ds_write2_b64 v15, v[0:1], v[2:3] offset1:1
.LBB9_24:                               ;   in Loop: Header=BB9_7 Depth=1
	s_or_b64 exec, exec, s[6:7]
	v_cmp_ge_u64_e32 vcc, s[26:27], v[4:5]
	s_and_b64 s[28:29], s[0:1], vcc
	s_and_saveexec_b64 s[6:7], s[28:29]
	s_cbranch_execz .LBB9_6
; %bb.25:                               ;   in Loop: Header=BB9_7 Depth=1
	s_mov_b32 s15, s14
	s_mov_b32 s28, s14
	;; [unrolled: 1-line block ×3, first 2 shown]
	v_pk_mov_b32 v[0:1], s[14:15], s[14:15] op_sel:[0,1]
	v_pk_mov_b32 v[2:3], s[28:29], s[28:29] op_sel:[0,1]
	ds_write2_b64 v15, v[0:1], v[2:3] offset1:1
	s_branch .LBB9_6
.LBB9_26:                               ;   in Loop: Header=BB9_7 Depth=1
	ds_read2_b64 v[20:23], v15 offset1:1
	v_cmp_le_u64_e32 vcc, s[26:27], v[4:5]
	s_and_b64 s[28:29], s[2:3], vcc
	s_and_b64 s[30:31], s[0:1], s[28:29]
	s_waitcnt lgkmcnt(0)
	v_mul_f64 v[0:1], v[10:11], v[22:23]
	v_mul_f64 v[2:3], v[12:13], v[22:23]
	v_fma_f64 v[0:1], v[12:13], v[20:21], -v[0:1]
	v_fmac_f64_e32 v[2:3], v[10:11], v[20:21]
	s_and_saveexec_b64 s[28:29], s[30:31]
	s_cbranch_execz .LBB9_28
; %bb.27:                               ;   in Loop: Header=BB9_7 Depth=1
	s_mul_i32 s30, s26, s13
	s_mul_hi_u32 s31, s26, s12
	s_add_i32 s30, s31, s30
	s_mul_i32 s31, s27, s12
	s_add_i32 s31, s30, s31
	s_mul_i32 s30, s26, s12
	s_lshl_b64 s[30:31], s[30:31], 4
	v_mov_b32_e32 v11, s31
	v_add_co_u32_e32 v10, vcc, s30, v7
	v_addc_co_u32_e32 v11, vcc, v14, v11, vcc
	global_store_dwordx4 v[10:11], v[0:3], off
.LBB9_28:                               ;   in Loop: Header=BB9_7 Depth=1
	s_or_b64 exec, exec, s[28:29]
	v_pk_mov_b32 v[12:13], v[0:1], v[0:1] op_sel:[0,1]
	v_pk_mov_b32 v[10:11], v[2:3], v[2:3] op_sel:[0,1]
	s_or_b64 exec, exec, s[6:7]
	s_and_saveexec_b64 s[6:7], s[8:9]
	s_cbranch_execnz .LBB9_17
	s_branch .LBB9_18
.LBB9_29:
	s_mov_b64 s[18:19], 0
.LBB9_30:
	v_cmp_eq_u32_e32 vcc, 0, v4
	s_and_saveexec_b64 s[2:3], vcc
	s_cbranch_execz .LBB9_33
; %bb.31:
	s_load_dwordx2 s[2:3], s[4:5], 0x30
	v_mov_b32_e32 v0, 0
	v_cmp_gt_i64_e64 s[8:9], s[18:19], 0
	s_waitcnt lgkmcnt(0)
	s_add_u32 s2, s2, s16
	s_addc_u32 s3, s3, s17
	global_load_dwordx2 v[2:3], v0, s[2:3]
	s_waitcnt vmcnt(0)
	v_readfirstlane_b32 s6, v2
	v_readfirstlane_b32 s7, v3
	s_cmp_eq_u64 s[6:7], 0
	s_cselect_b64 s[6:7], -1, 0
	s_and_b64 s[6:7], s[6:7], s[8:9]
	s_and_b64 s[0:1], s[0:1], s[6:7]
	s_and_b64 exec, exec, s[0:1]
	s_cbranch_execz .LBB9_33
; %bb.32:
	s_load_dwordx2 s[0:1], s[4:5], 0x40
	s_waitcnt lgkmcnt(0)
	s_add_u32 s0, s18, s0
	s_addc_u32 s1, s19, s1
	v_pk_mov_b32 v[2:3], s[0:1], s[0:1] op_sel:[0,1]
	global_store_dwordx2 v0, v[2:3], s[2:3]
.LBB9_33:
	s_endpgm
	.section	.rodata,"a",@progbits
	.p2align	6, 0x0
	.amdhsa_kernel _ZN9rocsolver6v33100L23getf2_npvt_panel_kernelI19rocblas_complex_numIdEllPKPS3_EEvT0_S7_T2_lS7_lPT1_S7_S7_
		.amdhsa_group_segment_fixed_size 0
		.amdhsa_private_segment_fixed_size 0
		.amdhsa_kernarg_size 328
		.amdhsa_user_sgpr_count 6
		.amdhsa_user_sgpr_private_segment_buffer 1
		.amdhsa_user_sgpr_dispatch_ptr 0
		.amdhsa_user_sgpr_queue_ptr 0
		.amdhsa_user_sgpr_kernarg_segment_ptr 1
		.amdhsa_user_sgpr_dispatch_id 0
		.amdhsa_user_sgpr_flat_scratch_init 0
		.amdhsa_user_sgpr_kernarg_preload_length 0
		.amdhsa_user_sgpr_kernarg_preload_offset 0
		.amdhsa_user_sgpr_private_segment_size 0
		.amdhsa_uses_dynamic_stack 0
		.amdhsa_system_sgpr_private_segment_wavefront_offset 0
		.amdhsa_system_sgpr_workgroup_id_x 1
		.amdhsa_system_sgpr_workgroup_id_y 0
		.amdhsa_system_sgpr_workgroup_id_z 1
		.amdhsa_system_sgpr_workgroup_info 0
		.amdhsa_system_vgpr_workitem_id 1
		.amdhsa_next_free_vgpr 33
		.amdhsa_next_free_sgpr 37
		.amdhsa_accum_offset 36
		.amdhsa_reserve_vcc 1
		.amdhsa_reserve_flat_scratch 0
		.amdhsa_float_round_mode_32 0
		.amdhsa_float_round_mode_16_64 0
		.amdhsa_float_denorm_mode_32 3
		.amdhsa_float_denorm_mode_16_64 3
		.amdhsa_dx10_clamp 1
		.amdhsa_ieee_mode 1
		.amdhsa_fp16_overflow 0
		.amdhsa_tg_split 0
		.amdhsa_exception_fp_ieee_invalid_op 0
		.amdhsa_exception_fp_denorm_src 0
		.amdhsa_exception_fp_ieee_div_zero 0
		.amdhsa_exception_fp_ieee_overflow 0
		.amdhsa_exception_fp_ieee_underflow 0
		.amdhsa_exception_fp_ieee_inexact 0
		.amdhsa_exception_int_div_zero 0
	.end_amdhsa_kernel
	.section	.text._ZN9rocsolver6v33100L23getf2_npvt_panel_kernelI19rocblas_complex_numIdEllPKPS3_EEvT0_S7_T2_lS7_lPT1_S7_S7_,"axG",@progbits,_ZN9rocsolver6v33100L23getf2_npvt_panel_kernelI19rocblas_complex_numIdEllPKPS3_EEvT0_S7_T2_lS7_lPT1_S7_S7_,comdat
.Lfunc_end9:
	.size	_ZN9rocsolver6v33100L23getf2_npvt_panel_kernelI19rocblas_complex_numIdEllPKPS3_EEvT0_S7_T2_lS7_lPT1_S7_S7_, .Lfunc_end9-_ZN9rocsolver6v33100L23getf2_npvt_panel_kernelI19rocblas_complex_numIdEllPKPS3_EEvT0_S7_T2_lS7_lPT1_S7_S7_
                                        ; -- End function
	.section	.AMDGPU.csdata,"",@progbits
; Kernel info:
; codeLenInByte = 1740
; NumSgprs: 41
; NumVgprs: 33
; NumAgprs: 0
; TotalNumVgprs: 33
; ScratchSize: 0
; MemoryBound: 1
; FloatMode: 240
; IeeeMode: 1
; LDSByteSize: 0 bytes/workgroup (compile time only)
; SGPRBlocks: 5
; VGPRBlocks: 4
; NumSGPRsForWavesPerEU: 41
; NumVGPRsForWavesPerEU: 33
; AccumOffset: 36
; Occupancy: 8
; WaveLimiterHint : 1
; COMPUTE_PGM_RSRC2:SCRATCH_EN: 0
; COMPUTE_PGM_RSRC2:USER_SGPR: 6
; COMPUTE_PGM_RSRC2:TRAP_HANDLER: 0
; COMPUTE_PGM_RSRC2:TGID_X_EN: 1
; COMPUTE_PGM_RSRC2:TGID_Y_EN: 0
; COMPUTE_PGM_RSRC2:TGID_Z_EN: 1
; COMPUTE_PGM_RSRC2:TIDIG_COMP_CNT: 1
; COMPUTE_PGM_RSRC3_GFX90A:ACCUM_OFFSET: 8
; COMPUTE_PGM_RSRC3_GFX90A:TG_SPLIT: 0
	.section	.text._ZN9rocsolver6v33100L25getf2_scale_update_kernelI19rocblas_complex_numIdElPS3_EEvT0_S5_PT_T1_lS5_l,"axG",@progbits,_ZN9rocsolver6v33100L25getf2_scale_update_kernelI19rocblas_complex_numIdElPS3_EEvT0_S5_PT_T1_lS5_l,comdat
	.globl	_ZN9rocsolver6v33100L25getf2_scale_update_kernelI19rocblas_complex_numIdElPS3_EEvT0_S5_PT_T1_lS5_l ; -- Begin function _ZN9rocsolver6v33100L25getf2_scale_update_kernelI19rocblas_complex_numIdElPS3_EEvT0_S5_PT_T1_lS5_l
	.p2align	8
	.type	_ZN9rocsolver6v33100L25getf2_scale_update_kernelI19rocblas_complex_numIdElPS3_EEvT0_S5_PT_T1_lS5_l,@function
_ZN9rocsolver6v33100L25getf2_scale_update_kernelI19rocblas_complex_numIdElPS3_EEvT0_S5_PT_T1_lS5_l: ; @_ZN9rocsolver6v33100L25getf2_scale_update_kernelI19rocblas_complex_numIdElPS3_EEvT0_S5_PT_T1_lS5_l
; %bb.0:
	s_load_dwordx8 s[8:15], s[4:5], 0x0
	s_load_dword s2, s[4:5], 0x44
	s_load_dwordx8 s[16:23], s[4:5], 0x20
	s_mov_b32 s0, s7
	s_mov_b32 s1, 0
	v_and_b32_e32 v2, 0x3ff, v0
	s_waitcnt lgkmcnt(0)
	s_lshr_b32 s22, s2, 16
	s_and_b32 s23, s2, 0xffff
	s_mul_i32 s2, s7, s21
	s_mul_hi_u32 s3, s7, s20
	s_add_i32 s3, s3, s2
	s_mul_i32 s2, s7, s20
	s_lshl_b64 s[2:3], s[2:3], 4
	s_add_u32 s7, s14, s2
	s_addc_u32 s20, s15, s3
	s_lshl_b64 s[4:5], s[16:17], 4
	s_add_u32 s16, s7, s4
	v_bfe_u32 v4, v0, 10, 10
	s_addc_u32 s17, s20, s5
	s_lshl_b64 s[0:1], s[0:1], 4
	v_mov_b32_e32 v5, 0
	s_add_u32 s12, s12, s0
	v_mad_u32_u24 v0, v2, s22, v4
	v_mov_b32_e32 v1, v5
	s_addc_u32 s13, s13, s1
	v_cmp_gt_i64_e32 vcc, s[10:11], v[0:1]
	s_and_saveexec_b64 s[0:1], vcc
	s_cbranch_execz .LBB10_2
; %bb.1:
	s_lshl_b32 s7, s23, 4
	s_add_i32 s7, s7, 0
	s_lshl_b64 s[20:21], s[18:19], 4
	s_add_u32 s24, s16, s20
	s_addc_u32 s25, s17, s21
	v_mad_u64_u32 v[6:7], s[20:21], v0, s18, 0
	v_mov_b32_e32 v8, v7
	v_mad_u64_u32 v[8:9], s[20:21], v0, s19, v[8:9]
	v_mov_b32_e32 v7, v8
	v_lshlrev_b64 v[6:7], 4, v[6:7]
	v_mov_b32_e32 v1, s25
	v_add_co_u32_e32 v6, vcc, s24, v6
	v_addc_co_u32_e32 v7, vcc, v1, v7, vcc
	global_load_dwordx4 v[6:9], v[6:7], off
	v_lshl_add_u32 v0, v0, 4, s7
	s_waitcnt vmcnt(0)
	ds_write2_b64 v0, v[6:7], v[8:9] offset1:1
.LBB10_2:
	s_or_b64 exec, exec, s[0:1]
	v_mov_b32_e32 v3, v5
	v_mov_b32_e32 v0, s6
	v_mad_u64_u32 v[0:1], s[0:1], s23, v0, v[2:3]
	v_cmp_eq_u32_e64 s[0:1], 0, v4
	v_cmp_gt_i64_e32 vcc, s[8:9], v[0:1]
	s_and_b64 s[0:1], s[0:1], vcc
	v_lshlrev_b64 v[6:7], 4, v[0:1]
	v_lshl_add_u32 v0, v2, 4, 0
	s_and_saveexec_b64 s[6:7], s[0:1]
	s_cbranch_execz .LBB10_4
; %bb.3:
	v_mov_b32_e32 v1, s17
	v_add_co_u32_e64 v2, s[0:1], s16, v6
	v_addc_co_u32_e64 v3, s[0:1], v1, v7, s[0:1]
	global_load_dwordx4 v[8:11], v[2:3], off offset:16
	s_load_dwordx4 s[24:27], s[12:13], 0x0
	s_waitcnt vmcnt(0) lgkmcnt(0)
	v_mul_f64 v[14:15], s[26:27], v[10:11]
	v_mul_f64 v[12:13], s[24:25], v[10:11]
	v_fma_f64 v[10:11], s[24:25], v[8:9], -v[14:15]
	v_fmac_f64_e32 v[12:13], s[26:27], v[8:9]
	ds_write2_b64 v0, v[10:11], v[12:13] offset1:1
	global_store_dwordx4 v[2:3], v[10:13], off offset:16
.LBB10_4:
	s_or_b64 exec, exec, s[6:7]
	v_cmp_gt_i64_e64 s[0:1], s[10:11], v[4:5]
	s_and_b64 s[0:1], vcc, s[0:1]
	s_waitcnt lgkmcnt(0)
	s_barrier
	s_and_saveexec_b64 s[6:7], s[0:1]
	s_cbranch_execz .LBB10_7
; %bb.5:
	s_add_u32 s0, s4, s2
	v_lshlrev_b32_e32 v12, 4, v4
	s_addc_u32 s1, s5, s3
	v_add_u32_e32 v11, 16, v12
	v_pk_mov_b32 v[8:9], s[0:1], s[0:1] op_sel:[0,1]
	v_mad_u64_u32 v[8:9], s[0:1], s18, v11, v[8:9]
	v_mov_b32_e32 v10, v9
	v_mad_u64_u32 v[10:11], s[0:1], s19, v11, v[10:11]
	v_mov_b32_e32 v9, v10
	v_add_co_u32_e32 v6, vcc, v8, v6
	ds_read2_b64 v[0:3], v0 offset1:1
	v_addc_co_u32_e32 v7, vcc, v9, v7, vcc
	v_mov_b32_e32 v8, s15
	v_add_co_u32_e32 v6, vcc, s14, v6
	s_mul_i32 s0, s19, s22
	s_mul_hi_u32 s1, s18, s22
	v_addc_co_u32_e32 v7, vcc, v7, v8, vcc
	s_add_i32 s1, s1, s0
	s_mul_i32 s0, s18, s22
	s_lshl_b32 s2, s23, 4
	s_mov_b32 s6, 0
	v_add_co_u32_e32 v6, vcc, 16, v6
	s_lshl_b64 s[0:1], s[0:1], 4
	s_add_i32 s2, s2, 0
	v_addc_co_u32_e32 v7, vcc, 0, v7, vcc
	v_add_u32_e32 v8, s2, v12
	s_lshl_b32 s4, s22, 4
	s_mov_b64 s[2:3], 0
	v_mov_b32_e32 v9, s6
	v_mov_b32_e32 v10, s1
.LBB10_6:                               ; =>This Inner Loop Header: Depth=1
	global_load_dwordx4 v[12:15], v[6:7], off
	ds_read2_b64 v[16:19], v8 offset1:1
	v_add_co_u32_e32 v4, vcc, s22, v4
	v_addc_co_u32_e32 v5, vcc, v5, v9, vcc
	s_waitcnt lgkmcnt(0)
	v_mul_f64 v[20:21], v[18:19], v[2:3]
	v_mul_f64 v[22:23], v[16:17], v[2:3]
	v_fma_f64 v[16:17], v[16:17], v[0:1], -v[20:21]
	v_fmac_f64_e32 v[22:23], v[18:19], v[0:1]
	v_cmp_le_i64_e32 vcc, s[10:11], v[4:5]
	s_or_b64 s[2:3], vcc, s[2:3]
	v_add_u32_e32 v8, s4, v8
	s_waitcnt vmcnt(0)
	v_add_f64 v[12:13], v[12:13], -v[16:17]
	v_add_f64 v[14:15], v[14:15], -v[22:23]
	global_store_dwordx4 v[6:7], v[12:15], off
	v_add_co_u32_e32 v6, vcc, s0, v6
	v_addc_co_u32_e32 v7, vcc, v7, v10, vcc
	s_andn2_b64 exec, exec, s[2:3]
	s_cbranch_execnz .LBB10_6
.LBB10_7:
	s_endpgm
	.section	.rodata,"a",@progbits
	.p2align	6, 0x0
	.amdhsa_kernel _ZN9rocsolver6v33100L25getf2_scale_update_kernelI19rocblas_complex_numIdElPS3_EEvT0_S5_PT_T1_lS5_l
		.amdhsa_group_segment_fixed_size 0
		.amdhsa_private_segment_fixed_size 0
		.amdhsa_kernarg_size 312
		.amdhsa_user_sgpr_count 6
		.amdhsa_user_sgpr_private_segment_buffer 1
		.amdhsa_user_sgpr_dispatch_ptr 0
		.amdhsa_user_sgpr_queue_ptr 0
		.amdhsa_user_sgpr_kernarg_segment_ptr 1
		.amdhsa_user_sgpr_dispatch_id 0
		.amdhsa_user_sgpr_flat_scratch_init 0
		.amdhsa_user_sgpr_kernarg_preload_length 0
		.amdhsa_user_sgpr_kernarg_preload_offset 0
		.amdhsa_user_sgpr_private_segment_size 0
		.amdhsa_uses_dynamic_stack 0
		.amdhsa_system_sgpr_private_segment_wavefront_offset 0
		.amdhsa_system_sgpr_workgroup_id_x 1
		.amdhsa_system_sgpr_workgroup_id_y 0
		.amdhsa_system_sgpr_workgroup_id_z 1
		.amdhsa_system_sgpr_workgroup_info 0
		.amdhsa_system_vgpr_workitem_id 1
		.amdhsa_next_free_vgpr 24
		.amdhsa_next_free_sgpr 28
		.amdhsa_accum_offset 24
		.amdhsa_reserve_vcc 1
		.amdhsa_reserve_flat_scratch 0
		.amdhsa_float_round_mode_32 0
		.amdhsa_float_round_mode_16_64 0
		.amdhsa_float_denorm_mode_32 3
		.amdhsa_float_denorm_mode_16_64 3
		.amdhsa_dx10_clamp 1
		.amdhsa_ieee_mode 1
		.amdhsa_fp16_overflow 0
		.amdhsa_tg_split 0
		.amdhsa_exception_fp_ieee_invalid_op 0
		.amdhsa_exception_fp_denorm_src 0
		.amdhsa_exception_fp_ieee_div_zero 0
		.amdhsa_exception_fp_ieee_overflow 0
		.amdhsa_exception_fp_ieee_underflow 0
		.amdhsa_exception_fp_ieee_inexact 0
		.amdhsa_exception_int_div_zero 0
	.end_amdhsa_kernel
	.section	.text._ZN9rocsolver6v33100L25getf2_scale_update_kernelI19rocblas_complex_numIdElPS3_EEvT0_S5_PT_T1_lS5_l,"axG",@progbits,_ZN9rocsolver6v33100L25getf2_scale_update_kernelI19rocblas_complex_numIdElPS3_EEvT0_S5_PT_T1_lS5_l,comdat
.Lfunc_end10:
	.size	_ZN9rocsolver6v33100L25getf2_scale_update_kernelI19rocblas_complex_numIdElPS3_EEvT0_S5_PT_T1_lS5_l, .Lfunc_end10-_ZN9rocsolver6v33100L25getf2_scale_update_kernelI19rocblas_complex_numIdElPS3_EEvT0_S5_PT_T1_lS5_l
                                        ; -- End function
	.section	.AMDGPU.csdata,"",@progbits
; Kernel info:
; codeLenInByte = 664
; NumSgprs: 32
; NumVgprs: 24
; NumAgprs: 0
; TotalNumVgprs: 24
; ScratchSize: 0
; MemoryBound: 0
; FloatMode: 240
; IeeeMode: 1
; LDSByteSize: 0 bytes/workgroup (compile time only)
; SGPRBlocks: 3
; VGPRBlocks: 2
; NumSGPRsForWavesPerEU: 32
; NumVGPRsForWavesPerEU: 24
; AccumOffset: 24
; Occupancy: 8
; WaveLimiterHint : 0
; COMPUTE_PGM_RSRC2:SCRATCH_EN: 0
; COMPUTE_PGM_RSRC2:USER_SGPR: 6
; COMPUTE_PGM_RSRC2:TRAP_HANDLER: 0
; COMPUTE_PGM_RSRC2:TGID_X_EN: 1
; COMPUTE_PGM_RSRC2:TGID_Y_EN: 0
; COMPUTE_PGM_RSRC2:TGID_Z_EN: 1
; COMPUTE_PGM_RSRC2:TIDIG_COMP_CNT: 1
; COMPUTE_PGM_RSRC3_GFX90A:ACCUM_OFFSET: 5
; COMPUTE_PGM_RSRC3_GFX90A:TG_SPLIT: 0
	.section	.text._ZN9rocsolver6v33100L25getf2_scale_update_kernelI19rocblas_complex_numIdElPKPS3_EEvT0_S7_PT_T1_lS7_l,"axG",@progbits,_ZN9rocsolver6v33100L25getf2_scale_update_kernelI19rocblas_complex_numIdElPKPS3_EEvT0_S7_PT_T1_lS7_l,comdat
	.globl	_ZN9rocsolver6v33100L25getf2_scale_update_kernelI19rocblas_complex_numIdElPKPS3_EEvT0_S7_PT_T1_lS7_l ; -- Begin function _ZN9rocsolver6v33100L25getf2_scale_update_kernelI19rocblas_complex_numIdElPKPS3_EEvT0_S7_PT_T1_lS7_l
	.p2align	8
	.type	_ZN9rocsolver6v33100L25getf2_scale_update_kernelI19rocblas_complex_numIdElPKPS3_EEvT0_S7_PT_T1_lS7_l,@function
_ZN9rocsolver6v33100L25getf2_scale_update_kernelI19rocblas_complex_numIdElPKPS3_EEvT0_S7_PT_T1_lS7_l: ; @_ZN9rocsolver6v33100L25getf2_scale_update_kernelI19rocblas_complex_numIdElPKPS3_EEvT0_S7_PT_T1_lS7_l
; %bb.0:
	s_mov_b32 s20, s7
	s_load_dword s7, s[4:5], 0x44
	s_load_dwordx4 s[0:3], s[4:5], 0x20
	s_load_dwordx8 s[8:15], s[4:5], 0x0
	s_mov_b32 s21, 0
	s_lshl_b64 s[4:5], s[20:21], 3
	s_waitcnt lgkmcnt(0)
	s_lshr_b32 s16, s7, 16
	s_and_b32 s17, s7, 0xffff
	s_add_u32 s4, s14, s4
	s_addc_u32 s5, s15, s5
	s_load_dwordx2 s[4:5], s[4:5], 0x0
	s_lshl_b64 s[14:15], s[0:1], 4
	v_and_b32_e32 v2, 0x3ff, v0
	v_bfe_u32 v4, v0, 10, 10
	v_mov_b32_e32 v5, 0
	s_waitcnt lgkmcnt(0)
	s_add_u32 s18, s4, s14
	s_addc_u32 s19, s5, s15
	s_lshl_b64 s[0:1], s[20:21], 4
	s_add_u32 s12, s12, s0
	v_mad_u32_u24 v0, v2, s16, v4
	v_mov_b32_e32 v1, v5
	s_addc_u32 s13, s13, s1
	v_cmp_gt_i64_e32 vcc, s[10:11], v[0:1]
	s_and_saveexec_b64 s[0:1], vcc
	s_cbranch_execz .LBB11_2
; %bb.1:
	s_lshl_b32 s7, s17, 4
	s_add_i32 s7, s7, 0
	s_lshl_b64 s[20:21], s[2:3], 4
	s_add_u32 s22, s18, s20
	s_addc_u32 s23, s19, s21
	v_mad_u64_u32 v[6:7], s[20:21], v0, s2, 0
	v_mov_b32_e32 v8, v7
	v_mad_u64_u32 v[8:9], s[20:21], v0, s3, v[8:9]
	v_mov_b32_e32 v7, v8
	v_lshlrev_b64 v[6:7], 4, v[6:7]
	v_mov_b32_e32 v1, s23
	v_add_co_u32_e32 v6, vcc, s22, v6
	v_addc_co_u32_e32 v7, vcc, v1, v7, vcc
	global_load_dwordx4 v[6:9], v[6:7], off
	v_lshl_add_u32 v0, v0, 4, s7
	s_waitcnt vmcnt(0)
	ds_write2_b64 v0, v[6:7], v[8:9] offset1:1
.LBB11_2:
	s_or_b64 exec, exec, s[0:1]
	v_mov_b32_e32 v3, v5
	v_mov_b32_e32 v0, s6
	v_mad_u64_u32 v[0:1], s[0:1], s17, v0, v[2:3]
	v_cmp_eq_u32_e64 s[0:1], 0, v4
	v_cmp_gt_i64_e32 vcc, s[8:9], v[0:1]
	s_and_b64 s[0:1], s[0:1], vcc
	v_lshlrev_b64 v[6:7], 4, v[0:1]
	v_lshl_add_u32 v0, v2, 4, 0
	s_and_saveexec_b64 s[6:7], s[0:1]
	s_cbranch_execz .LBB11_4
; %bb.3:
	v_mov_b32_e32 v1, s19
	v_add_co_u32_e64 v2, s[0:1], s18, v6
	v_addc_co_u32_e64 v3, s[0:1], v1, v7, s[0:1]
	global_load_dwordx4 v[8:11], v[2:3], off offset:16
	s_load_dwordx4 s[20:23], s[12:13], 0x0
	s_waitcnt vmcnt(0) lgkmcnt(0)
	v_mul_f64 v[14:15], s[22:23], v[10:11]
	v_mul_f64 v[12:13], s[20:21], v[10:11]
	v_fma_f64 v[10:11], s[20:21], v[8:9], -v[14:15]
	v_fmac_f64_e32 v[12:13], s[22:23], v[8:9]
	ds_write2_b64 v0, v[10:11], v[12:13] offset1:1
	global_store_dwordx4 v[2:3], v[10:13], off offset:16
.LBB11_4:
	s_or_b64 exec, exec, s[6:7]
	v_cmp_gt_i64_e64 s[0:1], s[10:11], v[4:5]
	s_and_b64 s[0:1], vcc, s[0:1]
	s_waitcnt lgkmcnt(0)
	s_barrier
	s_and_saveexec_b64 s[6:7], s[0:1]
	s_cbranch_execz .LBB11_7
; %bb.5:
	v_lshlrev_b32_e32 v12, 4, v4
	v_add_u32_e32 v11, 16, v12
	v_pk_mov_b32 v[8:9], s[14:15], s[14:15] op_sel:[0,1]
	v_mad_u64_u32 v[8:9], s[0:1], s2, v11, v[8:9]
	v_mov_b32_e32 v10, v9
	v_mad_u64_u32 v[10:11], s[0:1], s3, v11, v[10:11]
	v_mov_b32_e32 v9, v10
	v_add_co_u32_e32 v6, vcc, v8, v6
	ds_read2_b64 v[0:3], v0 offset1:1
	v_addc_co_u32_e32 v7, vcc, v9, v7, vcc
	v_mov_b32_e32 v8, s5
	v_add_co_u32_e32 v6, vcc, s4, v6
	s_mul_i32 s0, s3, s16
	s_mul_hi_u32 s1, s2, s16
	v_addc_co_u32_e32 v7, vcc, v7, v8, vcc
	s_add_i32 s1, s1, s0
	s_mul_i32 s0, s2, s16
	s_lshl_b32 s2, s17, 4
	s_mov_b32 s6, 0
	v_add_co_u32_e32 v6, vcc, 16, v6
	s_lshl_b64 s[0:1], s[0:1], 4
	s_add_i32 s2, s2, 0
	v_addc_co_u32_e32 v7, vcc, 0, v7, vcc
	v_add_u32_e32 v8, s2, v12
	s_lshl_b32 s4, s16, 4
	s_mov_b64 s[2:3], 0
	v_mov_b32_e32 v9, s6
	v_mov_b32_e32 v10, s1
.LBB11_6:                               ; =>This Inner Loop Header: Depth=1
	global_load_dwordx4 v[12:15], v[6:7], off
	ds_read2_b64 v[16:19], v8 offset1:1
	v_add_co_u32_e32 v4, vcc, s16, v4
	v_addc_co_u32_e32 v5, vcc, v5, v9, vcc
	s_waitcnt lgkmcnt(0)
	v_mul_f64 v[20:21], v[18:19], v[2:3]
	v_mul_f64 v[22:23], v[16:17], v[2:3]
	v_fma_f64 v[16:17], v[16:17], v[0:1], -v[20:21]
	v_fmac_f64_e32 v[22:23], v[18:19], v[0:1]
	v_cmp_le_i64_e32 vcc, s[10:11], v[4:5]
	s_or_b64 s[2:3], vcc, s[2:3]
	v_add_u32_e32 v8, s4, v8
	s_waitcnt vmcnt(0)
	v_add_f64 v[12:13], v[12:13], -v[16:17]
	v_add_f64 v[14:15], v[14:15], -v[22:23]
	global_store_dwordx4 v[6:7], v[12:15], off
	v_add_co_u32_e32 v6, vcc, s0, v6
	v_addc_co_u32_e32 v7, vcc, v7, v10, vcc
	s_andn2_b64 exec, exec, s[2:3]
	s_cbranch_execnz .LBB11_6
.LBB11_7:
	s_endpgm
	.section	.rodata,"a",@progbits
	.p2align	6, 0x0
	.amdhsa_kernel _ZN9rocsolver6v33100L25getf2_scale_update_kernelI19rocblas_complex_numIdElPKPS3_EEvT0_S7_PT_T1_lS7_l
		.amdhsa_group_segment_fixed_size 0
		.amdhsa_private_segment_fixed_size 0
		.amdhsa_kernarg_size 312
		.amdhsa_user_sgpr_count 6
		.amdhsa_user_sgpr_private_segment_buffer 1
		.amdhsa_user_sgpr_dispatch_ptr 0
		.amdhsa_user_sgpr_queue_ptr 0
		.amdhsa_user_sgpr_kernarg_segment_ptr 1
		.amdhsa_user_sgpr_dispatch_id 0
		.amdhsa_user_sgpr_flat_scratch_init 0
		.amdhsa_user_sgpr_kernarg_preload_length 0
		.amdhsa_user_sgpr_kernarg_preload_offset 0
		.amdhsa_user_sgpr_private_segment_size 0
		.amdhsa_uses_dynamic_stack 0
		.amdhsa_system_sgpr_private_segment_wavefront_offset 0
		.amdhsa_system_sgpr_workgroup_id_x 1
		.amdhsa_system_sgpr_workgroup_id_y 0
		.amdhsa_system_sgpr_workgroup_id_z 1
		.amdhsa_system_sgpr_workgroup_info 0
		.amdhsa_system_vgpr_workitem_id 1
		.amdhsa_next_free_vgpr 24
		.amdhsa_next_free_sgpr 24
		.amdhsa_accum_offset 24
		.amdhsa_reserve_vcc 1
		.amdhsa_reserve_flat_scratch 0
		.amdhsa_float_round_mode_32 0
		.amdhsa_float_round_mode_16_64 0
		.amdhsa_float_denorm_mode_32 3
		.amdhsa_float_denorm_mode_16_64 3
		.amdhsa_dx10_clamp 1
		.amdhsa_ieee_mode 1
		.amdhsa_fp16_overflow 0
		.amdhsa_tg_split 0
		.amdhsa_exception_fp_ieee_invalid_op 0
		.amdhsa_exception_fp_denorm_src 0
		.amdhsa_exception_fp_ieee_div_zero 0
		.amdhsa_exception_fp_ieee_overflow 0
		.amdhsa_exception_fp_ieee_underflow 0
		.amdhsa_exception_fp_ieee_inexact 0
		.amdhsa_exception_int_div_zero 0
	.end_amdhsa_kernel
	.section	.text._ZN9rocsolver6v33100L25getf2_scale_update_kernelI19rocblas_complex_numIdElPKPS3_EEvT0_S7_PT_T1_lS7_l,"axG",@progbits,_ZN9rocsolver6v33100L25getf2_scale_update_kernelI19rocblas_complex_numIdElPKPS3_EEvT0_S7_PT_T1_lS7_l,comdat
.Lfunc_end11:
	.size	_ZN9rocsolver6v33100L25getf2_scale_update_kernelI19rocblas_complex_numIdElPKPS3_EEvT0_S7_PT_T1_lS7_l, .Lfunc_end11-_ZN9rocsolver6v33100L25getf2_scale_update_kernelI19rocblas_complex_numIdElPKPS3_EEvT0_S7_PT_T1_lS7_l
                                        ; -- End function
	.section	.AMDGPU.csdata,"",@progbits
; Kernel info:
; codeLenInByte = 652
; NumSgprs: 28
; NumVgprs: 24
; NumAgprs: 0
; TotalNumVgprs: 24
; ScratchSize: 0
; MemoryBound: 0
; FloatMode: 240
; IeeeMode: 1
; LDSByteSize: 0 bytes/workgroup (compile time only)
; SGPRBlocks: 3
; VGPRBlocks: 2
; NumSGPRsForWavesPerEU: 28
; NumVGPRsForWavesPerEU: 24
; AccumOffset: 24
; Occupancy: 8
; WaveLimiterHint : 1
; COMPUTE_PGM_RSRC2:SCRATCH_EN: 0
; COMPUTE_PGM_RSRC2:USER_SGPR: 6
; COMPUTE_PGM_RSRC2:TRAP_HANDLER: 0
; COMPUTE_PGM_RSRC2:TGID_X_EN: 1
; COMPUTE_PGM_RSRC2:TGID_Y_EN: 0
; COMPUTE_PGM_RSRC2:TGID_Z_EN: 1
; COMPUTE_PGM_RSRC2:TIDIG_COMP_CNT: 1
; COMPUTE_PGM_RSRC3_GFX90A:ACCUM_OFFSET: 5
; COMPUTE_PGM_RSRC3_GFX90A:TG_SPLIT: 0
	.text
	.p2alignl 6, 3212836864
	.fill 256, 4, 3212836864
	.type	__hip_cuid_b9c6bc945452927a,@object ; @__hip_cuid_b9c6bc945452927a
	.section	.bss,"aw",@nobits
	.globl	__hip_cuid_b9c6bc945452927a
__hip_cuid_b9c6bc945452927a:
	.byte	0                               ; 0x0
	.size	__hip_cuid_b9c6bc945452927a, 1

	.ident	"AMD clang version 19.0.0git (https://github.com/RadeonOpenCompute/llvm-project roc-6.4.0 25133 c7fe45cf4b819c5991fe208aaa96edf142730f1d)"
	.section	".note.GNU-stack","",@progbits
	.addrsig
	.addrsig_sym __hip_cuid_b9c6bc945452927a
	.amdgpu_metadata
---
amdhsa.kernels:
  - .agpr_count:     0
    .args:
      - .offset:         0
        .size:           4
        .value_kind:     by_value
      - .offset:         4
        .size:           4
        .value_kind:     by_value
      - .address_space:  global
        .offset:         8
        .size:           8
        .value_kind:     global_buffer
      - .offset:         16
        .size:           8
        .value_kind:     by_value
      - .offset:         24
        .size:           4
        .value_kind:     by_value
      - .offset:         32
        .size:           8
        .value_kind:     by_value
      - .address_space:  global
        .offset:         40
        .size:           8
        .value_kind:     global_buffer
      - .offset:         48
        .size:           8
        .value_kind:     by_value
      - .offset:         56
        .size:           8
        .value_kind:     by_value
      - .address_space:  global
        .offset:         64
        .size:           8
        .value_kind:     global_buffer
      - .offset:         72
        .size:           4
        .value_kind:     by_value
      - .offset:         76
        .size:           4
        .value_kind:     by_value
      - .address_space:  global
        .offset:         80
        .size:           8
        .value_kind:     global_buffer
      - .offset:         88
        .size:           8
        .value_kind:     by_value
      - .offset:         96
        .size:           4
        .value_kind:     hidden_block_count_x
      - .offset:         100
        .size:           4
        .value_kind:     hidden_block_count_y
      - .offset:         104
        .size:           4
        .value_kind:     hidden_block_count_z
      - .offset:         108
        .size:           2
        .value_kind:     hidden_group_size_x
      - .offset:         110
        .size:           2
        .value_kind:     hidden_group_size_y
      - .offset:         112
        .size:           2
        .value_kind:     hidden_group_size_z
      - .offset:         114
        .size:           2
        .value_kind:     hidden_remainder_x
      - .offset:         116
        .size:           2
        .value_kind:     hidden_remainder_y
      - .offset:         118
        .size:           2
        .value_kind:     hidden_remainder_z
      - .offset:         136
        .size:           8
        .value_kind:     hidden_global_offset_x
      - .offset:         144
        .size:           8
        .value_kind:     hidden_global_offset_y
      - .offset:         152
        .size:           8
        .value_kind:     hidden_global_offset_z
      - .offset:         160
        .size:           2
        .value_kind:     hidden_grid_dims
      - .offset:         216
        .size:           4
        .value_kind:     hidden_dynamic_lds_size
    .group_segment_fixed_size: 16
    .kernarg_segment_align: 8
    .kernarg_segment_size: 352
    .language:       OpenCL C
    .language_version:
      - 2
      - 0
    .max_flat_workgroup_size: 1024
    .name:           _ZN9rocsolver6v33100L18getf2_panel_kernelI19rocblas_complex_numIdEiiPS3_EEvT0_S5_T2_lS5_lPS5_llPT1_S5_S5_S7_l
    .private_segment_fixed_size: 0
    .sgpr_count:     55
    .sgpr_spill_count: 0
    .symbol:         _ZN9rocsolver6v33100L18getf2_panel_kernelI19rocblas_complex_numIdEiiPS3_EEvT0_S5_T2_lS5_lPS5_llPT1_S5_S5_S7_l.kd
    .uniform_work_group_size: 1
    .uses_dynamic_stack: false
    .vgpr_count:     42
    .vgpr_spill_count: 0
    .wavefront_size: 64
  - .agpr_count:     0
    .args:
      - .offset:         0
        .size:           4
        .value_kind:     by_value
      - .offset:         4
        .size:           4
        .value_kind:     by_value
      - .address_space:  global
        .offset:         8
        .size:           8
        .value_kind:     global_buffer
      - .offset:         16
        .size:           8
        .value_kind:     by_value
      - .offset:         24
        .size:           4
        .value_kind:     by_value
      - .offset:         32
        .size:           8
        .value_kind:     by_value
      - .address_space:  global
        .offset:         40
        .size:           8
        .value_kind:     global_buffer
      - .offset:         48
        .size:           4
        .value_kind:     by_value
      - .offset:         52
        .size:           4
        .value_kind:     by_value
      - .offset:         56
        .size:           4
        .value_kind:     hidden_block_count_x
      - .offset:         60
        .size:           4
        .value_kind:     hidden_block_count_y
      - .offset:         64
        .size:           4
        .value_kind:     hidden_block_count_z
      - .offset:         68
        .size:           2
        .value_kind:     hidden_group_size_x
      - .offset:         70
        .size:           2
        .value_kind:     hidden_group_size_y
      - .offset:         72
        .size:           2
        .value_kind:     hidden_group_size_z
      - .offset:         74
        .size:           2
        .value_kind:     hidden_remainder_x
      - .offset:         76
        .size:           2
        .value_kind:     hidden_remainder_y
      - .offset:         78
        .size:           2
        .value_kind:     hidden_remainder_z
      - .offset:         96
        .size:           8
        .value_kind:     hidden_global_offset_x
      - .offset:         104
        .size:           8
        .value_kind:     hidden_global_offset_y
      - .offset:         112
        .size:           8
        .value_kind:     hidden_global_offset_z
      - .offset:         120
        .size:           2
        .value_kind:     hidden_grid_dims
      - .offset:         176
        .size:           4
        .value_kind:     hidden_dynamic_lds_size
    .group_segment_fixed_size: 0
    .kernarg_segment_align: 8
    .kernarg_segment_size: 312
    .language:       OpenCL C
    .language_version:
      - 2
      - 0
    .max_flat_workgroup_size: 1024
    .name:           _ZN9rocsolver6v33100L23getf2_npvt_panel_kernelI19rocblas_complex_numIdEiiPS3_EEvT0_S5_T2_lS5_lPT1_S5_S5_
    .private_segment_fixed_size: 0
    .sgpr_count:     35
    .sgpr_spill_count: 0
    .symbol:         _ZN9rocsolver6v33100L23getf2_npvt_panel_kernelI19rocblas_complex_numIdEiiPS3_EEvT0_S5_T2_lS5_lPT1_S5_S5_.kd
    .uniform_work_group_size: 1
    .uses_dynamic_stack: false
    .vgpr_count:     28
    .vgpr_spill_count: 0
    .wavefront_size: 64
  - .agpr_count:     0
    .args:
      - .offset:         0
        .size:           4
        .value_kind:     by_value
      - .offset:         4
        .size:           4
        .value_kind:     by_value
      - .address_space:  global
        .offset:         8
        .size:           8
        .value_kind:     global_buffer
      - .offset:         16
        .size:           8
        .value_kind:     by_value
      - .offset:         24
        .size:           4
        .value_kind:     by_value
      - .offset:         32
        .size:           8
        .value_kind:     by_value
      - .address_space:  global
        .offset:         40
        .size:           8
        .value_kind:     global_buffer
      - .offset:         48
        .size:           8
        .value_kind:     by_value
      - .offset:         56
        .size:           8
        .value_kind:     by_value
      - .address_space:  global
        .offset:         64
        .size:           8
        .value_kind:     global_buffer
      - .offset:         72
        .size:           4
        .value_kind:     by_value
      - .offset:         76
        .size:           4
        .value_kind:     by_value
      - .address_space:  global
        .offset:         80
        .size:           8
        .value_kind:     global_buffer
      - .offset:         88
        .size:           8
        .value_kind:     by_value
      - .offset:         96
        .size:           4
        .value_kind:     hidden_block_count_x
      - .offset:         100
        .size:           4
        .value_kind:     hidden_block_count_y
      - .offset:         104
        .size:           4
        .value_kind:     hidden_block_count_z
      - .offset:         108
        .size:           2
        .value_kind:     hidden_group_size_x
      - .offset:         110
        .size:           2
        .value_kind:     hidden_group_size_y
      - .offset:         112
        .size:           2
        .value_kind:     hidden_group_size_z
      - .offset:         114
        .size:           2
        .value_kind:     hidden_remainder_x
      - .offset:         116
        .size:           2
        .value_kind:     hidden_remainder_y
      - .offset:         118
        .size:           2
        .value_kind:     hidden_remainder_z
      - .offset:         136
        .size:           8
        .value_kind:     hidden_global_offset_x
      - .offset:         144
        .size:           8
        .value_kind:     hidden_global_offset_y
      - .offset:         152
        .size:           8
        .value_kind:     hidden_global_offset_z
      - .offset:         160
        .size:           2
        .value_kind:     hidden_grid_dims
      - .offset:         216
        .size:           4
        .value_kind:     hidden_dynamic_lds_size
    .group_segment_fixed_size: 16
    .kernarg_segment_align: 8
    .kernarg_segment_size: 352
    .language:       OpenCL C
    .language_version:
      - 2
      - 0
    .max_flat_workgroup_size: 1024
    .name:           _ZN9rocsolver6v33100L18getf2_panel_kernelI19rocblas_complex_numIdEiiPKPS3_EEvT0_S7_T2_lS7_lPS7_llPT1_S7_S7_S9_l
    .private_segment_fixed_size: 0
    .sgpr_count:     55
    .sgpr_spill_count: 0
    .symbol:         _ZN9rocsolver6v33100L18getf2_panel_kernelI19rocblas_complex_numIdEiiPKPS3_EEvT0_S7_T2_lS7_lPS7_llPT1_S7_S7_S9_l.kd
    .uniform_work_group_size: 1
    .uses_dynamic_stack: false
    .vgpr_count:     42
    .vgpr_spill_count: 0
    .wavefront_size: 64
  - .agpr_count:     0
    .args:
      - .offset:         0
        .size:           4
        .value_kind:     by_value
      - .offset:         4
        .size:           4
        .value_kind:     by_value
      - .address_space:  global
        .offset:         8
        .size:           8
        .value_kind:     global_buffer
      - .offset:         16
        .size:           8
        .value_kind:     by_value
      - .offset:         24
        .size:           4
        .value_kind:     by_value
      - .offset:         32
        .size:           8
        .value_kind:     by_value
      - .address_space:  global
        .offset:         40
        .size:           8
        .value_kind:     global_buffer
      - .offset:         48
        .size:           4
        .value_kind:     by_value
      - .offset:         52
        .size:           4
        .value_kind:     by_value
      - .offset:         56
        .size:           4
        .value_kind:     hidden_block_count_x
      - .offset:         60
        .size:           4
        .value_kind:     hidden_block_count_y
      - .offset:         64
        .size:           4
        .value_kind:     hidden_block_count_z
      - .offset:         68
        .size:           2
        .value_kind:     hidden_group_size_x
      - .offset:         70
        .size:           2
        .value_kind:     hidden_group_size_y
      - .offset:         72
        .size:           2
        .value_kind:     hidden_group_size_z
      - .offset:         74
        .size:           2
        .value_kind:     hidden_remainder_x
      - .offset:         76
        .size:           2
        .value_kind:     hidden_remainder_y
      - .offset:         78
        .size:           2
        .value_kind:     hidden_remainder_z
      - .offset:         96
        .size:           8
        .value_kind:     hidden_global_offset_x
      - .offset:         104
        .size:           8
        .value_kind:     hidden_global_offset_y
      - .offset:         112
        .size:           8
        .value_kind:     hidden_global_offset_z
      - .offset:         120
        .size:           2
        .value_kind:     hidden_grid_dims
      - .offset:         176
        .size:           4
        .value_kind:     hidden_dynamic_lds_size
    .group_segment_fixed_size: 0
    .kernarg_segment_align: 8
    .kernarg_segment_size: 312
    .language:       OpenCL C
    .language_version:
      - 2
      - 0
    .max_flat_workgroup_size: 1024
    .name:           _ZN9rocsolver6v33100L23getf2_npvt_panel_kernelI19rocblas_complex_numIdEiiPKPS3_EEvT0_S7_T2_lS7_lPT1_S7_S7_
    .private_segment_fixed_size: 0
    .sgpr_count:     33
    .sgpr_spill_count: 0
    .symbol:         _ZN9rocsolver6v33100L23getf2_npvt_panel_kernelI19rocblas_complex_numIdEiiPKPS3_EEvT0_S7_T2_lS7_lPT1_S7_S7_.kd
    .uniform_work_group_size: 1
    .uses_dynamic_stack: false
    .vgpr_count:     28
    .vgpr_spill_count: 0
    .wavefront_size: 64
  - .agpr_count:     0
    .args:
      - .offset:         0
        .size:           4
        .value_kind:     by_value
      - .offset:         4
        .size:           4
        .value_kind:     by_value
      - .address_space:  global
        .offset:         8
        .size:           8
        .value_kind:     global_buffer
      - .address_space:  global
        .offset:         16
        .size:           8
        .value_kind:     global_buffer
      - .offset:         24
        .size:           8
        .value_kind:     by_value
      - .offset:         32
        .size:           4
        .value_kind:     by_value
      - .offset:         40
        .size:           8
        .value_kind:     by_value
      - .offset:         48
        .size:           4
        .value_kind:     hidden_block_count_x
      - .offset:         52
        .size:           4
        .value_kind:     hidden_block_count_y
      - .offset:         56
        .size:           4
        .value_kind:     hidden_block_count_z
      - .offset:         60
        .size:           2
        .value_kind:     hidden_group_size_x
      - .offset:         62
        .size:           2
        .value_kind:     hidden_group_size_y
      - .offset:         64
        .size:           2
        .value_kind:     hidden_group_size_z
      - .offset:         66
        .size:           2
        .value_kind:     hidden_remainder_x
      - .offset:         68
        .size:           2
        .value_kind:     hidden_remainder_y
      - .offset:         70
        .size:           2
        .value_kind:     hidden_remainder_z
      - .offset:         88
        .size:           8
        .value_kind:     hidden_global_offset_x
      - .offset:         96
        .size:           8
        .value_kind:     hidden_global_offset_y
      - .offset:         104
        .size:           8
        .value_kind:     hidden_global_offset_z
      - .offset:         112
        .size:           2
        .value_kind:     hidden_grid_dims
      - .offset:         168
        .size:           4
        .value_kind:     hidden_dynamic_lds_size
    .group_segment_fixed_size: 0
    .kernarg_segment_align: 8
    .kernarg_segment_size: 304
    .language:       OpenCL C
    .language_version:
      - 2
      - 0
    .max_flat_workgroup_size: 1024
    .name:           _ZN9rocsolver6v33100L25getf2_scale_update_kernelI19rocblas_complex_numIdEiPS3_EEvT0_S5_PT_T1_lS5_l
    .private_segment_fixed_size: 0
    .sgpr_count:     24
    .sgpr_spill_count: 0
    .symbol:         _ZN9rocsolver6v33100L25getf2_scale_update_kernelI19rocblas_complex_numIdEiPS3_EEvT0_S5_PT_T1_lS5_l.kd
    .uniform_work_group_size: 1
    .uses_dynamic_stack: false
    .vgpr_count:     24
    .vgpr_spill_count: 0
    .wavefront_size: 64
  - .agpr_count:     0
    .args:
      - .offset:         0
        .size:           4
        .value_kind:     by_value
      - .offset:         4
        .size:           4
        .value_kind:     by_value
      - .address_space:  global
        .offset:         8
        .size:           8
        .value_kind:     global_buffer
      - .address_space:  global
        .offset:         16
        .size:           8
        .value_kind:     global_buffer
      - .offset:         24
        .size:           8
        .value_kind:     by_value
      - .offset:         32
        .size:           4
        .value_kind:     by_value
      - .offset:         40
        .size:           8
        .value_kind:     by_value
      - .offset:         48
        .size:           4
        .value_kind:     hidden_block_count_x
      - .offset:         52
        .size:           4
        .value_kind:     hidden_block_count_y
      - .offset:         56
        .size:           4
        .value_kind:     hidden_block_count_z
      - .offset:         60
        .size:           2
        .value_kind:     hidden_group_size_x
      - .offset:         62
        .size:           2
        .value_kind:     hidden_group_size_y
      - .offset:         64
        .size:           2
        .value_kind:     hidden_group_size_z
      - .offset:         66
        .size:           2
        .value_kind:     hidden_remainder_x
      - .offset:         68
        .size:           2
        .value_kind:     hidden_remainder_y
      - .offset:         70
        .size:           2
        .value_kind:     hidden_remainder_z
      - .offset:         88
        .size:           8
        .value_kind:     hidden_global_offset_x
      - .offset:         96
        .size:           8
        .value_kind:     hidden_global_offset_y
      - .offset:         104
        .size:           8
        .value_kind:     hidden_global_offset_z
      - .offset:         112
        .size:           2
        .value_kind:     hidden_grid_dims
      - .offset:         168
        .size:           4
        .value_kind:     hidden_dynamic_lds_size
    .group_segment_fixed_size: 0
    .kernarg_segment_align: 8
    .kernarg_segment_size: 304
    .language:       OpenCL C
    .language_version:
      - 2
      - 0
    .max_flat_workgroup_size: 1024
    .name:           _ZN9rocsolver6v33100L25getf2_scale_update_kernelI19rocblas_complex_numIdEiPKPS3_EEvT0_S7_PT_T1_lS7_l
    .private_segment_fixed_size: 0
    .sgpr_count:     24
    .sgpr_spill_count: 0
    .symbol:         _ZN9rocsolver6v33100L25getf2_scale_update_kernelI19rocblas_complex_numIdEiPKPS3_EEvT0_S7_PT_T1_lS7_l.kd
    .uniform_work_group_size: 1
    .uses_dynamic_stack: false
    .vgpr_count:     24
    .vgpr_spill_count: 0
    .wavefront_size: 64
  - .agpr_count:     0
    .args:
      - .offset:         0
        .size:           8
        .value_kind:     by_value
      - .offset:         8
        .size:           8
        .value_kind:     by_value
      - .address_space:  global
        .offset:         16
        .size:           8
        .value_kind:     global_buffer
      - .offset:         24
        .size:           8
        .value_kind:     by_value
      - .offset:         32
        .size:           8
        .value_kind:     by_value
      - .offset:         40
        .size:           8
        .value_kind:     by_value
      - .address_space:  global
        .offset:         48
        .size:           8
        .value_kind:     global_buffer
      - .offset:         56
        .size:           8
        .value_kind:     by_value
      - .offset:         64
        .size:           8
        .value_kind:     by_value
      - .address_space:  global
        .offset:         72
        .size:           8
        .value_kind:     global_buffer
      - .offset:         80
        .size:           8
        .value_kind:     by_value
      - .offset:         88
        .size:           8
        .value_kind:     by_value
      - .address_space:  global
        .offset:         96
        .size:           8
        .value_kind:     global_buffer
      - .offset:         104
        .size:           8
        .value_kind:     by_value
      - .offset:         112
        .size:           4
        .value_kind:     hidden_block_count_x
      - .offset:         116
        .size:           4
        .value_kind:     hidden_block_count_y
      - .offset:         120
        .size:           4
        .value_kind:     hidden_block_count_z
      - .offset:         124
        .size:           2
        .value_kind:     hidden_group_size_x
      - .offset:         126
        .size:           2
        .value_kind:     hidden_group_size_y
      - .offset:         128
        .size:           2
        .value_kind:     hidden_group_size_z
      - .offset:         130
        .size:           2
        .value_kind:     hidden_remainder_x
      - .offset:         132
        .size:           2
        .value_kind:     hidden_remainder_y
      - .offset:         134
        .size:           2
        .value_kind:     hidden_remainder_z
      - .offset:         152
        .size:           8
        .value_kind:     hidden_global_offset_x
      - .offset:         160
        .size:           8
        .value_kind:     hidden_global_offset_y
      - .offset:         168
        .size:           8
        .value_kind:     hidden_global_offset_z
      - .offset:         176
        .size:           2
        .value_kind:     hidden_grid_dims
      - .offset:         232
        .size:           4
        .value_kind:     hidden_dynamic_lds_size
    .group_segment_fixed_size: 16
    .kernarg_segment_align: 8
    .kernarg_segment_size: 368
    .language:       OpenCL C
    .language_version:
      - 2
      - 0
    .max_flat_workgroup_size: 1024
    .name:           _ZN9rocsolver6v33100L18getf2_panel_kernelI19rocblas_complex_numIdEllPS3_EEvT0_S5_T2_lS5_lPS5_llPT1_S5_S5_S7_l
    .private_segment_fixed_size: 0
    .sgpr_count:     67
    .sgpr_spill_count: 0
    .symbol:         _ZN9rocsolver6v33100L18getf2_panel_kernelI19rocblas_complex_numIdEllPS3_EEvT0_S5_T2_lS5_lPS5_llPT1_S5_S5_S7_l.kd
    .uniform_work_group_size: 1
    .uses_dynamic_stack: false
    .vgpr_count:     42
    .vgpr_spill_count: 0
    .wavefront_size: 64
  - .agpr_count:     0
    .args:
      - .offset:         0
        .size:           8
        .value_kind:     by_value
      - .offset:         8
        .size:           8
        .value_kind:     by_value
      - .address_space:  global
        .offset:         16
        .size:           8
        .value_kind:     global_buffer
      - .offset:         24
        .size:           8
        .value_kind:     by_value
      - .offset:         32
        .size:           8
        .value_kind:     by_value
      - .offset:         40
        .size:           8
        .value_kind:     by_value
      - .address_space:  global
        .offset:         48
        .size:           8
        .value_kind:     global_buffer
      - .offset:         56
        .size:           8
        .value_kind:     by_value
      - .offset:         64
        .size:           8
        .value_kind:     by_value
      - .offset:         72
        .size:           4
        .value_kind:     hidden_block_count_x
      - .offset:         76
        .size:           4
        .value_kind:     hidden_block_count_y
      - .offset:         80
        .size:           4
        .value_kind:     hidden_block_count_z
      - .offset:         84
        .size:           2
        .value_kind:     hidden_group_size_x
      - .offset:         86
        .size:           2
        .value_kind:     hidden_group_size_y
      - .offset:         88
        .size:           2
        .value_kind:     hidden_group_size_z
      - .offset:         90
        .size:           2
        .value_kind:     hidden_remainder_x
      - .offset:         92
        .size:           2
        .value_kind:     hidden_remainder_y
      - .offset:         94
        .size:           2
        .value_kind:     hidden_remainder_z
      - .offset:         112
        .size:           8
        .value_kind:     hidden_global_offset_x
      - .offset:         120
        .size:           8
        .value_kind:     hidden_global_offset_y
      - .offset:         128
        .size:           8
        .value_kind:     hidden_global_offset_z
      - .offset:         136
        .size:           2
        .value_kind:     hidden_grid_dims
      - .offset:         192
        .size:           4
        .value_kind:     hidden_dynamic_lds_size
    .group_segment_fixed_size: 0
    .kernarg_segment_align: 8
    .kernarg_segment_size: 328
    .language:       OpenCL C
    .language_version:
      - 2
      - 0
    .max_flat_workgroup_size: 1024
    .name:           _ZN9rocsolver6v33100L23getf2_npvt_panel_kernelI19rocblas_complex_numIdEllPS3_EEvT0_S5_T2_lS5_lPT1_S5_S5_
    .private_segment_fixed_size: 0
    .sgpr_count:     43
    .sgpr_spill_count: 0
    .symbol:         _ZN9rocsolver6v33100L23getf2_npvt_panel_kernelI19rocblas_complex_numIdEllPS3_EEvT0_S5_T2_lS5_lPT1_S5_S5_.kd
    .uniform_work_group_size: 1
    .uses_dynamic_stack: false
    .vgpr_count:     33
    .vgpr_spill_count: 0
    .wavefront_size: 64
  - .agpr_count:     0
    .args:
      - .offset:         0
        .size:           8
        .value_kind:     by_value
      - .offset:         8
        .size:           8
        .value_kind:     by_value
      - .address_space:  global
        .offset:         16
        .size:           8
        .value_kind:     global_buffer
      - .offset:         24
        .size:           8
        .value_kind:     by_value
      - .offset:         32
        .size:           8
        .value_kind:     by_value
      - .offset:         40
        .size:           8
        .value_kind:     by_value
      - .address_space:  global
        .offset:         48
        .size:           8
        .value_kind:     global_buffer
      - .offset:         56
        .size:           8
        .value_kind:     by_value
      - .offset:         64
        .size:           8
        .value_kind:     by_value
      - .address_space:  global
        .offset:         72
        .size:           8
        .value_kind:     global_buffer
      - .offset:         80
        .size:           8
        .value_kind:     by_value
      - .offset:         88
        .size:           8
        .value_kind:     by_value
      - .address_space:  global
        .offset:         96
        .size:           8
        .value_kind:     global_buffer
      - .offset:         104
        .size:           8
        .value_kind:     by_value
      - .offset:         112
        .size:           4
        .value_kind:     hidden_block_count_x
      - .offset:         116
        .size:           4
        .value_kind:     hidden_block_count_y
      - .offset:         120
        .size:           4
        .value_kind:     hidden_block_count_z
      - .offset:         124
        .size:           2
        .value_kind:     hidden_group_size_x
      - .offset:         126
        .size:           2
        .value_kind:     hidden_group_size_y
      - .offset:         128
        .size:           2
        .value_kind:     hidden_group_size_z
      - .offset:         130
        .size:           2
        .value_kind:     hidden_remainder_x
      - .offset:         132
        .size:           2
        .value_kind:     hidden_remainder_y
      - .offset:         134
        .size:           2
        .value_kind:     hidden_remainder_z
      - .offset:         152
        .size:           8
        .value_kind:     hidden_global_offset_x
      - .offset:         160
        .size:           8
        .value_kind:     hidden_global_offset_y
      - .offset:         168
        .size:           8
        .value_kind:     hidden_global_offset_z
      - .offset:         176
        .size:           2
        .value_kind:     hidden_grid_dims
      - .offset:         232
        .size:           4
        .value_kind:     hidden_dynamic_lds_size
    .group_segment_fixed_size: 16
    .kernarg_segment_align: 8
    .kernarg_segment_size: 368
    .language:       OpenCL C
    .language_version:
      - 2
      - 0
    .max_flat_workgroup_size: 1024
    .name:           _ZN9rocsolver6v33100L18getf2_panel_kernelI19rocblas_complex_numIdEllPKPS3_EEvT0_S7_T2_lS7_lPS7_llPT1_S7_S7_S9_l
    .private_segment_fixed_size: 0
    .sgpr_count:     67
    .sgpr_spill_count: 0
    .symbol:         _ZN9rocsolver6v33100L18getf2_panel_kernelI19rocblas_complex_numIdEllPKPS3_EEvT0_S7_T2_lS7_lPS7_llPT1_S7_S7_S9_l.kd
    .uniform_work_group_size: 1
    .uses_dynamic_stack: false
    .vgpr_count:     42
    .vgpr_spill_count: 0
    .wavefront_size: 64
  - .agpr_count:     0
    .args:
      - .offset:         0
        .size:           8
        .value_kind:     by_value
      - .offset:         8
        .size:           8
        .value_kind:     by_value
      - .address_space:  global
        .offset:         16
        .size:           8
        .value_kind:     global_buffer
      - .offset:         24
        .size:           8
        .value_kind:     by_value
      - .offset:         32
        .size:           8
        .value_kind:     by_value
      - .offset:         40
        .size:           8
        .value_kind:     by_value
      - .address_space:  global
        .offset:         48
        .size:           8
        .value_kind:     global_buffer
      - .offset:         56
        .size:           8
        .value_kind:     by_value
      - .offset:         64
        .size:           8
        .value_kind:     by_value
      - .offset:         72
        .size:           4
        .value_kind:     hidden_block_count_x
      - .offset:         76
        .size:           4
        .value_kind:     hidden_block_count_y
      - .offset:         80
        .size:           4
        .value_kind:     hidden_block_count_z
      - .offset:         84
        .size:           2
        .value_kind:     hidden_group_size_x
      - .offset:         86
        .size:           2
        .value_kind:     hidden_group_size_y
      - .offset:         88
        .size:           2
        .value_kind:     hidden_group_size_z
      - .offset:         90
        .size:           2
        .value_kind:     hidden_remainder_x
      - .offset:         92
        .size:           2
        .value_kind:     hidden_remainder_y
      - .offset:         94
        .size:           2
        .value_kind:     hidden_remainder_z
      - .offset:         112
        .size:           8
        .value_kind:     hidden_global_offset_x
      - .offset:         120
        .size:           8
        .value_kind:     hidden_global_offset_y
      - .offset:         128
        .size:           8
        .value_kind:     hidden_global_offset_z
      - .offset:         136
        .size:           2
        .value_kind:     hidden_grid_dims
      - .offset:         192
        .size:           4
        .value_kind:     hidden_dynamic_lds_size
    .group_segment_fixed_size: 0
    .kernarg_segment_align: 8
    .kernarg_segment_size: 328
    .language:       OpenCL C
    .language_version:
      - 2
      - 0
    .max_flat_workgroup_size: 1024
    .name:           _ZN9rocsolver6v33100L23getf2_npvt_panel_kernelI19rocblas_complex_numIdEllPKPS3_EEvT0_S7_T2_lS7_lPT1_S7_S7_
    .private_segment_fixed_size: 0
    .sgpr_count:     41
    .sgpr_spill_count: 0
    .symbol:         _ZN9rocsolver6v33100L23getf2_npvt_panel_kernelI19rocblas_complex_numIdEllPKPS3_EEvT0_S7_T2_lS7_lPT1_S7_S7_.kd
    .uniform_work_group_size: 1
    .uses_dynamic_stack: false
    .vgpr_count:     33
    .vgpr_spill_count: 0
    .wavefront_size: 64
  - .agpr_count:     0
    .args:
      - .offset:         0
        .size:           8
        .value_kind:     by_value
      - .offset:         8
        .size:           8
        .value_kind:     by_value
      - .address_space:  global
        .offset:         16
        .size:           8
        .value_kind:     global_buffer
      - .address_space:  global
        .offset:         24
        .size:           8
        .value_kind:     global_buffer
      - .offset:         32
        .size:           8
        .value_kind:     by_value
      - .offset:         40
        .size:           8
        .value_kind:     by_value
      - .offset:         48
        .size:           8
        .value_kind:     by_value
      - .offset:         56
        .size:           4
        .value_kind:     hidden_block_count_x
      - .offset:         60
        .size:           4
        .value_kind:     hidden_block_count_y
      - .offset:         64
        .size:           4
        .value_kind:     hidden_block_count_z
      - .offset:         68
        .size:           2
        .value_kind:     hidden_group_size_x
      - .offset:         70
        .size:           2
        .value_kind:     hidden_group_size_y
      - .offset:         72
        .size:           2
        .value_kind:     hidden_group_size_z
      - .offset:         74
        .size:           2
        .value_kind:     hidden_remainder_x
      - .offset:         76
        .size:           2
        .value_kind:     hidden_remainder_y
      - .offset:         78
        .size:           2
        .value_kind:     hidden_remainder_z
      - .offset:         96
        .size:           8
        .value_kind:     hidden_global_offset_x
      - .offset:         104
        .size:           8
        .value_kind:     hidden_global_offset_y
      - .offset:         112
        .size:           8
        .value_kind:     hidden_global_offset_z
      - .offset:         120
        .size:           2
        .value_kind:     hidden_grid_dims
      - .offset:         176
        .size:           4
        .value_kind:     hidden_dynamic_lds_size
    .group_segment_fixed_size: 0
    .kernarg_segment_align: 8
    .kernarg_segment_size: 312
    .language:       OpenCL C
    .language_version:
      - 2
      - 0
    .max_flat_workgroup_size: 1024
    .name:           _ZN9rocsolver6v33100L25getf2_scale_update_kernelI19rocblas_complex_numIdElPS3_EEvT0_S5_PT_T1_lS5_l
    .private_segment_fixed_size: 0
    .sgpr_count:     32
    .sgpr_spill_count: 0
    .symbol:         _ZN9rocsolver6v33100L25getf2_scale_update_kernelI19rocblas_complex_numIdElPS3_EEvT0_S5_PT_T1_lS5_l.kd
    .uniform_work_group_size: 1
    .uses_dynamic_stack: false
    .vgpr_count:     24
    .vgpr_spill_count: 0
    .wavefront_size: 64
  - .agpr_count:     0
    .args:
      - .offset:         0
        .size:           8
        .value_kind:     by_value
      - .offset:         8
        .size:           8
        .value_kind:     by_value
      - .address_space:  global
        .offset:         16
        .size:           8
        .value_kind:     global_buffer
      - .address_space:  global
        .offset:         24
        .size:           8
        .value_kind:     global_buffer
      - .offset:         32
        .size:           8
        .value_kind:     by_value
      - .offset:         40
        .size:           8
        .value_kind:     by_value
      - .offset:         48
        .size:           8
        .value_kind:     by_value
      - .offset:         56
        .size:           4
        .value_kind:     hidden_block_count_x
      - .offset:         60
        .size:           4
        .value_kind:     hidden_block_count_y
      - .offset:         64
        .size:           4
        .value_kind:     hidden_block_count_z
      - .offset:         68
        .size:           2
        .value_kind:     hidden_group_size_x
      - .offset:         70
        .size:           2
        .value_kind:     hidden_group_size_y
      - .offset:         72
        .size:           2
        .value_kind:     hidden_group_size_z
      - .offset:         74
        .size:           2
        .value_kind:     hidden_remainder_x
      - .offset:         76
        .size:           2
        .value_kind:     hidden_remainder_y
      - .offset:         78
        .size:           2
        .value_kind:     hidden_remainder_z
      - .offset:         96
        .size:           8
        .value_kind:     hidden_global_offset_x
      - .offset:         104
        .size:           8
        .value_kind:     hidden_global_offset_y
      - .offset:         112
        .size:           8
        .value_kind:     hidden_global_offset_z
      - .offset:         120
        .size:           2
        .value_kind:     hidden_grid_dims
      - .offset:         176
        .size:           4
        .value_kind:     hidden_dynamic_lds_size
    .group_segment_fixed_size: 0
    .kernarg_segment_align: 8
    .kernarg_segment_size: 312
    .language:       OpenCL C
    .language_version:
      - 2
      - 0
    .max_flat_workgroup_size: 1024
    .name:           _ZN9rocsolver6v33100L25getf2_scale_update_kernelI19rocblas_complex_numIdElPKPS3_EEvT0_S7_PT_T1_lS7_l
    .private_segment_fixed_size: 0
    .sgpr_count:     28
    .sgpr_spill_count: 0
    .symbol:         _ZN9rocsolver6v33100L25getf2_scale_update_kernelI19rocblas_complex_numIdElPKPS3_EEvT0_S7_PT_T1_lS7_l.kd
    .uniform_work_group_size: 1
    .uses_dynamic_stack: false
    .vgpr_count:     24
    .vgpr_spill_count: 0
    .wavefront_size: 64
amdhsa.target:   amdgcn-amd-amdhsa--gfx90a
amdhsa.version:
  - 1
  - 2
...

	.end_amdgpu_metadata
